;; amdgpu-corpus repo=ROCm/rocFFT kind=compiled arch=gfx90a opt=O3
	.text
	.amdgcn_target "amdgcn-amd-amdhsa--gfx90a"
	.amdhsa_code_object_version 6
	.protected	fft_rtc_fwd_len2401_factors_7_7_7_7_wgs_49_tpt_49_halfLds_sp_ip_CI_sbrr_dirReg ; -- Begin function fft_rtc_fwd_len2401_factors_7_7_7_7_wgs_49_tpt_49_halfLds_sp_ip_CI_sbrr_dirReg
	.globl	fft_rtc_fwd_len2401_factors_7_7_7_7_wgs_49_tpt_49_halfLds_sp_ip_CI_sbrr_dirReg
	.p2align	8
	.type	fft_rtc_fwd_len2401_factors_7_7_7_7_wgs_49_tpt_49_halfLds_sp_ip_CI_sbrr_dirReg,@function
fft_rtc_fwd_len2401_factors_7_7_7_7_wgs_49_tpt_49_halfLds_sp_ip_CI_sbrr_dirReg: ; @fft_rtc_fwd_len2401_factors_7_7_7_7_wgs_49_tpt_49_halfLds_sp_ip_CI_sbrr_dirReg
; %bb.0:
	s_load_dwordx2 s[14:15], s[4:5], 0x18
	s_load_dwordx4 s[8:11], s[4:5], 0x0
	s_load_dwordx2 s[12:13], s[4:5], 0x50
	v_mul_u32_u24_e32 v1, 0x53a, v0
	v_mov_b32_e32 v4, 0
	s_waitcnt lgkmcnt(0)
	s_load_dwordx2 s[2:3], s[14:15], 0x0
	v_cmp_lt_u64_e64 s[0:1], s[10:11], 2
	v_add_u32_sdwa v6, s6, v1 dst_sel:DWORD dst_unused:UNUSED_PAD src0_sel:DWORD src1_sel:WORD_1
	v_mov_b32_e32 v7, v4
	s_and_b64 vcc, exec, s[0:1]
	v_pk_mov_b32 v[2:3], 0, 0
	s_cbranch_vccnz .LBB0_8
; %bb.1:
	s_load_dwordx2 s[0:1], s[4:5], 0x10
	s_add_u32 s6, s14, 8
	s_addc_u32 s7, s15, 0
	s_mov_b64 s[16:17], 1
	v_pk_mov_b32 v[2:3], 0, 0
	s_waitcnt lgkmcnt(0)
	s_add_u32 s18, s0, 8
	s_addc_u32 s19, s1, 0
.LBB0_2:                                ; =>This Inner Loop Header: Depth=1
	s_load_dwordx2 s[20:21], s[18:19], 0x0
                                        ; implicit-def: $vgpr8_vgpr9
	s_waitcnt lgkmcnt(0)
	v_or_b32_e32 v5, s21, v7
	v_cmp_ne_u64_e32 vcc, 0, v[4:5]
	s_and_saveexec_b64 s[0:1], vcc
	s_xor_b64 s[22:23], exec, s[0:1]
	s_cbranch_execz .LBB0_4
; %bb.3:                                ;   in Loop: Header=BB0_2 Depth=1
	v_cvt_f32_u32_e32 v1, s20
	v_cvt_f32_u32_e32 v5, s21
	s_sub_u32 s0, 0, s20
	s_subb_u32 s1, 0, s21
	v_mac_f32_e32 v1, 0x4f800000, v5
	v_rcp_f32_e32 v1, v1
	v_mul_f32_e32 v1, 0x5f7ffffc, v1
	v_mul_f32_e32 v5, 0x2f800000, v1
	v_trunc_f32_e32 v5, v5
	v_mac_f32_e32 v1, 0xcf800000, v5
	v_cvt_u32_f32_e32 v5, v5
	v_cvt_u32_f32_e32 v1, v1
	v_mul_lo_u32 v8, s0, v5
	v_mul_hi_u32 v10, s0, v1
	v_mul_lo_u32 v9, s1, v1
	v_add_u32_e32 v8, v10, v8
	v_mul_lo_u32 v11, s0, v1
	v_add_u32_e32 v8, v8, v9
	v_mul_hi_u32 v10, v1, v11
	v_mul_lo_u32 v12, v1, v8
	v_mul_hi_u32 v9, v1, v8
	v_add_co_u32_e32 v10, vcc, v10, v12
	v_addc_co_u32_e32 v9, vcc, 0, v9, vcc
	v_mul_hi_u32 v13, v5, v11
	v_mul_lo_u32 v11, v5, v11
	v_add_co_u32_e32 v10, vcc, v10, v11
	v_mul_hi_u32 v12, v5, v8
	v_addc_co_u32_e32 v9, vcc, v9, v13, vcc
	v_addc_co_u32_e32 v10, vcc, 0, v12, vcc
	v_mul_lo_u32 v8, v5, v8
	v_add_co_u32_e32 v8, vcc, v9, v8
	v_addc_co_u32_e32 v9, vcc, 0, v10, vcc
	v_add_co_u32_e32 v1, vcc, v1, v8
	v_addc_co_u32_e32 v5, vcc, v5, v9, vcc
	v_mul_lo_u32 v8, s0, v5
	v_mul_hi_u32 v9, s0, v1
	v_add_u32_e32 v8, v9, v8
	v_mul_lo_u32 v9, s1, v1
	v_add_u32_e32 v8, v8, v9
	v_mul_lo_u32 v10, s0, v1
	v_mul_hi_u32 v11, v5, v10
	v_mul_lo_u32 v12, v5, v10
	v_mul_lo_u32 v14, v1, v8
	v_mul_hi_u32 v10, v1, v10
	v_mul_hi_u32 v13, v1, v8
	v_add_co_u32_e32 v10, vcc, v10, v14
	v_addc_co_u32_e32 v13, vcc, 0, v13, vcc
	v_add_co_u32_e32 v10, vcc, v10, v12
	v_mul_hi_u32 v9, v5, v8
	v_addc_co_u32_e32 v10, vcc, v13, v11, vcc
	v_addc_co_u32_e32 v9, vcc, 0, v9, vcc
	v_mul_lo_u32 v8, v5, v8
	v_add_co_u32_e32 v8, vcc, v10, v8
	v_addc_co_u32_e32 v9, vcc, 0, v9, vcc
	v_add_co_u32_e32 v1, vcc, v1, v8
	v_addc_co_u32_e32 v5, vcc, v5, v9, vcc
	v_mad_u64_u32 v[8:9], s[0:1], v6, v5, 0
	v_mul_hi_u32 v10, v6, v1
	v_add_co_u32_e32 v12, vcc, v10, v8
	v_addc_co_u32_e32 v13, vcc, 0, v9, vcc
	v_mad_u64_u32 v[10:11], s[0:1], v7, v1, 0
	v_add_co_u32_e32 v1, vcc, v12, v10
	v_mad_u64_u32 v[8:9], s[0:1], v7, v5, 0
	v_addc_co_u32_e32 v1, vcc, v13, v11, vcc
	v_addc_co_u32_e32 v5, vcc, 0, v9, vcc
	v_add_co_u32_e32 v1, vcc, v1, v8
	v_addc_co_u32_e32 v5, vcc, 0, v5, vcc
	v_mul_lo_u32 v10, s21, v1
	v_mul_lo_u32 v11, s20, v5
	v_mad_u64_u32 v[8:9], s[0:1], s20, v1, 0
	v_add3_u32 v9, v9, v11, v10
	v_sub_u32_e32 v10, v7, v9
	v_mov_b32_e32 v11, s21
	v_sub_co_u32_e32 v8, vcc, v6, v8
	v_subb_co_u32_e64 v10, s[0:1], v10, v11, vcc
	v_subrev_co_u32_e64 v11, s[0:1], s20, v8
	v_subbrev_co_u32_e64 v10, s[0:1], 0, v10, s[0:1]
	v_cmp_le_u32_e64 s[0:1], s21, v10
	v_cndmask_b32_e64 v12, 0, -1, s[0:1]
	v_cmp_le_u32_e64 s[0:1], s20, v11
	v_cndmask_b32_e64 v11, 0, -1, s[0:1]
	v_cmp_eq_u32_e64 s[0:1], s21, v10
	v_cndmask_b32_e64 v10, v12, v11, s[0:1]
	v_add_co_u32_e64 v11, s[0:1], 2, v1
	v_addc_co_u32_e64 v12, s[0:1], 0, v5, s[0:1]
	v_add_co_u32_e64 v13, s[0:1], 1, v1
	v_addc_co_u32_e64 v14, s[0:1], 0, v5, s[0:1]
	v_subb_co_u32_e32 v9, vcc, v7, v9, vcc
	v_cmp_ne_u32_e64 s[0:1], 0, v10
	v_cmp_le_u32_e32 vcc, s21, v9
	v_cndmask_b32_e64 v10, v14, v12, s[0:1]
	v_cndmask_b32_e64 v12, 0, -1, vcc
	v_cmp_le_u32_e32 vcc, s20, v8
	v_cndmask_b32_e64 v8, 0, -1, vcc
	v_cmp_eq_u32_e32 vcc, s21, v9
	v_cndmask_b32_e32 v8, v12, v8, vcc
	v_cmp_ne_u32_e32 vcc, 0, v8
	v_cndmask_b32_e32 v9, v5, v10, vcc
	v_cndmask_b32_e64 v5, v13, v11, s[0:1]
	v_cndmask_b32_e32 v8, v1, v5, vcc
.LBB0_4:                                ;   in Loop: Header=BB0_2 Depth=1
	s_andn2_saveexec_b64 s[0:1], s[22:23]
	s_cbranch_execz .LBB0_6
; %bb.5:                                ;   in Loop: Header=BB0_2 Depth=1
	v_cvt_f32_u32_e32 v1, s20
	s_sub_i32 s22, 0, s20
	v_rcp_iflag_f32_e32 v1, v1
	v_mul_f32_e32 v1, 0x4f7ffffe, v1
	v_cvt_u32_f32_e32 v1, v1
	v_mul_lo_u32 v5, s22, v1
	v_mul_hi_u32 v5, v1, v5
	v_add_u32_e32 v1, v1, v5
	v_mul_hi_u32 v1, v6, v1
	v_mul_lo_u32 v5, v1, s20
	v_sub_u32_e32 v5, v6, v5
	v_add_u32_e32 v8, 1, v1
	v_subrev_u32_e32 v9, s20, v5
	v_cmp_le_u32_e32 vcc, s20, v5
	v_cndmask_b32_e32 v5, v5, v9, vcc
	v_cndmask_b32_e32 v1, v1, v8, vcc
	v_add_u32_e32 v8, 1, v1
	v_cmp_le_u32_e32 vcc, s20, v5
	v_cndmask_b32_e32 v8, v1, v8, vcc
	v_mov_b32_e32 v9, v4
.LBB0_6:                                ;   in Loop: Header=BB0_2 Depth=1
	s_or_b64 exec, exec, s[0:1]
	v_mad_u64_u32 v[10:11], s[0:1], v8, s20, 0
	s_load_dwordx2 s[0:1], s[6:7], 0x0
	v_mul_lo_u32 v1, v9, s20
	v_mul_lo_u32 v5, v8, s21
	v_add3_u32 v1, v11, v5, v1
	v_sub_co_u32_e32 v5, vcc, v6, v10
	s_add_u32 s16, s16, 1
	v_subb_co_u32_e32 v1, vcc, v7, v1, vcc
	s_addc_u32 s17, s17, 0
	s_waitcnt lgkmcnt(0)
	v_mul_lo_u32 v1, s0, v1
	v_mul_lo_u32 v6, s1, v5
	v_mad_u64_u32 v[2:3], s[0:1], s0, v5, v[2:3]
	s_add_u32 s6, s6, 8
	v_add3_u32 v3, v6, v3, v1
	s_addc_u32 s7, s7, 0
	v_pk_mov_b32 v[6:7], s[10:11], s[10:11] op_sel:[0,1]
	s_add_u32 s18, s18, 8
	v_cmp_ge_u64_e32 vcc, s[16:17], v[6:7]
	s_addc_u32 s19, s19, 0
	s_cbranch_vccnz .LBB0_9
; %bb.7:                                ;   in Loop: Header=BB0_2 Depth=1
	v_pk_mov_b32 v[6:7], v[8:9], v[8:9] op_sel:[0,1]
	s_branch .LBB0_2
.LBB0_8:
	v_pk_mov_b32 v[8:9], v[6:7], v[6:7] op_sel:[0,1]
.LBB0_9:
	s_lshl_b64 s[0:1], s[10:11], 3
	s_add_u32 s0, s14, s0
	s_addc_u32 s1, s15, s1
	s_load_dwordx2 s[6:7], s[0:1], 0x0
	s_load_dwordx2 s[10:11], s[4:5], 0x20
	s_mov_b32 s4, 0x539782a
                                        ; implicit-def: $vgpr97
                                        ; implicit-def: $vgpr119
                                        ; implicit-def: $vgpr163
                                        ; implicit-def: $vgpr165
                                        ; implicit-def: $vgpr169
                                        ; implicit-def: $vgpr173
	s_waitcnt lgkmcnt(0)
	v_mul_lo_u32 v1, s6, v9
	v_mul_lo_u32 v4, s7, v8
	v_mad_u64_u32 v[2:3], s[0:1], s6, v8, v[2:3]
	v_add3_u32 v3, v4, v3, v1
	v_mul_hi_u32 v1, v0, s4
	v_mul_u32_u24_e32 v1, 49, v1
	v_sub_u32_e32 v159, v0, v1
	v_cmp_gt_u64_e32 vcc, s[10:11], v[8:9]
	v_cmp_le_u64_e64 s[0:1], s[10:11], v[8:9]
	v_add_u32_e32 v121, 49, v159
                                        ; implicit-def: $sgpr6_sgpr7
	s_and_saveexec_b64 s[4:5], s[0:1]
	s_xor_b64 s[0:1], exec, s[4:5]
; %bb.10:
	v_add_u32_e32 v97, 49, v159
	v_add_u32_e32 v119, 0x62, v159
	;; [unrolled: 1-line block ×6, first 2 shown]
	s_mov_b64 s[6:7], 0
; %bb.11:
	s_or_saveexec_b64 s[4:5], s[0:1]
	v_pk_mov_b32 v[76:77], s[6:7], s[6:7] op_sel:[0,1]
	v_lshlrev_b64 v[4:5], 3, v[2:3]
	v_pk_mov_b32 v[84:85], s[6:7], s[6:7] op_sel:[0,1]
	v_pk_mov_b32 v[78:79], s[6:7], s[6:7] op_sel:[0,1]
	;; [unrolled: 1-line block ×27, first 2 shown]
                                        ; implicit-def: $vgpr104
                                        ; implicit-def: $vgpr10
                                        ; implicit-def: $vgpr94
                                        ; implicit-def: $vgpr54
                                        ; implicit-def: $vgpr12
                                        ; implicit-def: $vgpr48
                                        ; implicit-def: $vgpr58
                                        ; implicit-def: $vgpr18
                                        ; implicit-def: $vgpr56
                                        ; implicit-def: $vgpr70
                                        ; implicit-def: $vgpr24
                                        ; implicit-def: $vgpr66
                                        ; implicit-def: $vgpr82
                                        ; implicit-def: $vgpr30
                                        ; implicit-def: $vgpr74
                                        ; implicit-def: $vgpr90
                                        ; implicit-def: $vgpr64
                                        ; implicit-def: $vgpr86
                                        ; implicit-def: $vgpr106
                                        ; implicit-def: $vgpr92
                                        ; implicit-def: $vgpr100
	s_xor_b64 exec, exec, s[4:5]
	s_cbranch_execz .LBB0_13
; %bb.12:
	v_mad_u64_u32 v[0:1], s[0:1], s2, v159, 0
	v_mov_b32_e32 v2, v1
	v_mad_u64_u32 v[2:3], s[0:1], s3, v159, v[2:3]
	v_mov_b32_e32 v1, v2
	v_mov_b32_e32 v2, s13
	v_add_co_u32_e64 v26, s[0:1], s12, v4
	v_addc_co_u32_e64 v27, s[0:1], v2, v5, s[0:1]
	v_lshlrev_b64 v[0:1], 3, v[0:1]
	v_add_co_u32_e64 v0, s[0:1], v26, v0
	v_add_u32_e32 v7, 0x157, v159
	v_addc_co_u32_e64 v1, s[0:1], v27, v1, s[0:1]
	v_mad_u64_u32 v[2:3], s[0:1], s2, v7, 0
	v_mov_b32_e32 v6, v3
	v_mad_u64_u32 v[6:7], s[0:1], s3, v7, v[6:7]
	v_mov_b32_e32 v3, v6
	v_lshlrev_b64 v[2:3], 3, v[2:3]
	v_add_co_u32_e64 v2, s[0:1], v26, v2
	v_add_u32_e32 v9, 0x2ae, v159
	v_addc_co_u32_e64 v3, s[0:1], v27, v3, s[0:1]
	v_mad_u64_u32 v[6:7], s[0:1], s2, v9, 0
	v_mov_b32_e32 v8, v7
	v_mad_u64_u32 v[8:9], s[0:1], s3, v9, v[8:9]
	v_mov_b32_e32 v7, v8
	;; [unrolled: 8-line block ×6, first 2 shown]
	v_lshlrev_b64 v[14:15], 3, v[14:15]
	v_add_co_u32_e64 v14, s[0:1], v26, v14
	v_addc_co_u32_e64 v15, s[0:1], v27, v15, s[0:1]
	v_mad_u64_u32 v[16:17], s[0:1], s2, v121, 0
	v_mov_b32_e32 v18, v17
	v_mad_u64_u32 v[18:19], s[0:1], s3, v121, v[18:19]
	v_mov_b32_e32 v17, v18
	v_lshlrev_b64 v[16:17], 3, v[16:17]
	v_add_co_u32_e64 v16, s[0:1], v26, v16
	v_add_u32_e32 v21, 0x188, v159
	v_addc_co_u32_e64 v17, s[0:1], v27, v17, s[0:1]
	v_mad_u64_u32 v[18:19], s[0:1], s2, v21, 0
	v_mov_b32_e32 v20, v19
	v_mad_u64_u32 v[20:21], s[0:1], s3, v21, v[20:21]
	v_mov_b32_e32 v19, v20
	v_lshlrev_b64 v[18:19], 3, v[18:19]
	v_add_co_u32_e64 v18, s[0:1], v26, v18
	v_add_u32_e32 v23, 0x2df, v159
	;; [unrolled: 8-line block ×41, first 2 shown]
	v_addc_co_u32_e64 v149, s[0:1], v27, v29, s[0:1]
	v_mad_u64_u32 v[28:29], s[0:1], s2, v31, 0
	v_mov_b32_e32 v30, v29
	v_mad_u64_u32 v[30:31], s[0:1], s3, v31, v[30:31]
	v_mov_b32_e32 v29, v30
	v_lshlrev_b64 v[28:29], 3, v[28:29]
	v_add_co_u32_e64 v150, s[0:1], v26, v28
	v_addc_co_u32_e64 v151, s[0:1], v27, v29, s[0:1]
	global_load_dwordx2 v[80:81], v[0:1], off
	global_load_dwordx2 v[76:77], v[2:3], off
	;; [unrolled: 1-line block ×10, first 2 shown]
                                        ; kill: killed $vgpr14 killed $vgpr15
                                        ; kill: killed $vgpr0 killed $vgpr1
                                        ; kill: killed $vgpr16 killed $vgpr17
                                        ; kill: killed $vgpr10 killed $vgpr11
                                        ; kill: killed $vgpr2 killed $vgpr3
                                        ; kill: killed $vgpr18 killed $vgpr19
                                        ; kill: killed $vgpr12 killed $vgpr13
                                        ; kill: killed $vgpr6 killed $vgpr7
                                        ; kill: killed $vgpr22 killed $vgpr23
                                        ; kill: killed $vgpr8 killed $vgpr9
	global_load_dwordx2 v[86:87], v[20:21], off
	global_load_dwordx2 v[72:73], v[24:25], off
	;; [unrolled: 1-line block ×10, first 2 shown]
                                        ; kill: killed $vgpr38 killed $vgpr39
                                        ; kill: killed $vgpr40 killed $vgpr41
                                        ; kill: killed $vgpr24 killed $vgpr25
                                        ; kill: killed $vgpr48 killed $vgpr49
                                        ; kill: killed $vgpr42 killed $vgpr43
                                        ; kill: killed $vgpr36 killed $vgpr37
                                        ; kill: killed $vgpr50 killed $vgpr51
                                        ; kill: killed $vgpr44 killed $vgpr45
                                        ; kill: killed $vgpr20 killed $vgpr21
                                        ; kill: killed $vgpr46 killed $vgpr47
	global_load_dwordx2 v[82:83], v[54:55], off
	global_load_dwordx2 v[20:21], v[56:57], off
	;; [unrolled: 1-line block ×10, first 2 shown]
                                        ; kill: killed $vgpr54 killed $vgpr55
                                        ; kill: killed $vgpr102 killed $vgpr103
                                        ; kill: killed $vgpr56 killed $vgpr57
                                        ; kill: killed $vgpr104 killed $vgpr105
                                        ; kill: killed $vgpr96 killed $vgpr97
                                        ; kill: killed $vgpr58 killed $vgpr59
                                        ; kill: killed $vgpr110 killed $vgpr111
                                        ; kill: killed $vgpr98 killed $vgpr99
                                        ; kill: killed $vgpr88 killed $vgpr89
                                        ; kill: killed $vgpr94 killed $vgpr95
	global_load_dwordx2 v[16:17], v[108:109], off
	global_load_dwordx2 v[56:57], v[112:113], off
	;; [unrolled: 1-line block ×10, first 2 shown]
                                        ; kill: killed $vgpr122 killed $vgpr123
                                        ; kill: killed $vgpr124 killed $vgpr125
                                        ; kill: killed $vgpr114 killed $vgpr115
                                        ; kill: killed $vgpr132 killed $vgpr133
                                        ; kill: killed $vgpr126 killed $vgpr127
                                        ; kill: killed $vgpr116 killed $vgpr117
                                        ; kill: killed $vgpr108 killed $vgpr109
                                        ; kill: killed $vgpr128 killed $vgpr129
                                        ; kill: killed $vgpr112 killed $vgpr113
                                        ; kill: killed $vgpr130 killed $vgpr131
	global_load_dwordx2 v[12:13], v[134:135], off
	global_load_dwordx2 v[54:55], v[136:137], off
	;; [unrolled: 1-line block ×9, first 2 shown]
	v_mov_b32_e32 v97, v121
.LBB0_13:
	s_or_b64 exec, exec, s[4:5]
	s_waitcnt vmcnt(43)
	v_sub_f32_e32 v88, v84, v92
	v_add_f32_e32 v182, v100, v78
	v_sub_f32_e32 v78, v78, v100
	s_waitcnt vmcnt(42)
	v_add_f32_e32 v109, v106, v76
	v_sub_f32_e32 v76, v76, v106
	v_sub_f32_e32 v102, v78, v88
	;; [unrolled: 1-line block ×3, first 2 shown]
	v_add_f32_e32 v118, v101, v79
	v_sub_f32_e32 v79, v79, v101
	v_add_f32_e32 v100, v88, v78
	v_sub_f32_e32 v88, v88, v76
	v_mul_f32_e32 v122, 0xbf08b237, v102
	s_mov_b32 s4, 0x3f5ff5aa
	v_add_f32_e32 v99, v107, v77
	v_sub_f32_e32 v77, v77, v107
	v_sub_f32_e32 v96, v109, v182
	;; [unrolled: 1-line block ×4, first 2 shown]
	v_add_f32_e32 v76, v76, v100
	v_fma_f32 v114, v88, s4, -v122
	v_sub_f32_e32 v98, v99, v118
	v_add_f32_e32 v101, v89, v79
	v_sub_f32_e32 v89, v89, v77
	v_mul_f32_e32 v176, 0x3f4a47b2, v96
	v_mul_f32_e32 v120, 0x3ee1c552, v76
	;; [unrolled: 1-line block ×4, first 2 shown]
	s_mov_b32 s1, 0xbeae86e6
	v_fmac_f32_e32 v114, 0x3ee1c552, v76
	s_waitcnt vmcnt(36)
	v_sub_f32_e32 v76, v34, v64
	v_add_f32_e32 v172, v86, v72
	v_sub_f32_e32 v72, v72, v86
	v_sub_f32_e32 v79, v77, v79
	v_add_f32_e32 v77, v77, v101
	v_mul_f32_e32 v116, 0x3f4a47b2, v98
	v_mul_f32_e32 v98, 0x3f5ff5aa, v89
	v_fmac_f32_e32 v122, 0x3eae86e6, v78
	v_fma_f32 v174, v89, s4, -v180
	v_fma_f32 v123, v78, s1, -v96
	s_waitcnt vmcnt(35)
	v_add_f32_e32 v101, v90, v68
	v_sub_f32_e32 v68, v68, v90
	v_sub_f32_e32 v78, v35, v65
	v_add_f32_e32 v106, v87, v73
	v_sub_f32_e32 v73, v73, v87
	v_sub_f32_e32 v89, v72, v76
	v_mul_f32_e32 v178, 0x3ee1c552, v77
	v_fmac_f32_e32 v174, 0x3ee1c552, v77
	v_add_f32_e32 v77, v91, v69
	v_sub_f32_e32 v69, v69, v91
	v_add_f32_e32 v87, v76, v72
	v_sub_f32_e32 v90, v73, v78
	v_sub_f32_e32 v76, v76, v68
	v_mul_f32_e32 v102, 0xbf08b237, v89
	v_fmac_f32_e32 v180, 0x3eae86e6, v79
	v_fma_f32 v181, v79, s1, -v98
	v_sub_f32_e32 v79, v101, v172
	v_sub_f32_e32 v86, v77, v106
	v_add_f32_e32 v88, v78, v73
	v_sub_f32_e32 v72, v68, v72
	v_sub_f32_e32 v78, v78, v69
	v_add_f32_e32 v68, v68, v87
	v_mul_f32_e32 v170, 0xbf08b237, v90
	v_fma_f32 v96, v76, s4, -v102
	v_sub_f32_e32 v73, v69, v73
	v_add_f32_e32 v69, v69, v88
	v_mul_f32_e32 v166, 0x3f4a47b2, v79
	v_mul_f32_e32 v98, 0x3f4a47b2, v86
	;; [unrolled: 1-line block ×5, first 2 shown]
	v_fma_f32 v164, v78, s4, -v170
	v_fmac_f32_e32 v96, 0x3ee1c552, v68
	s_waitcnt vmcnt(28)
	v_add_f32_e32 v87, v82, v62
	v_sub_f32_e32 v62, v62, v82
	v_sub_f32_e32 v68, v28, v30
	v_add_f32_e32 v162, v74, v60
	v_sub_f32_e32 v60, v60, v74
	v_mul_f32_e32 v168, 0x3ee1c552, v69
	v_fmac_f32_e32 v102, 0x3eae86e6, v72
	v_fmac_f32_e32 v170, 0x3eae86e6, v73
	v_fma_f32 v103, v72, s1, -v79
	v_fma_f32 v171, v73, s1, -v86
	v_fmac_f32_e32 v164, 0x3ee1c552, v69
	v_add_f32_e32 v73, v83, v63
	v_sub_f32_e32 v63, v63, v83
	v_sub_f32_e32 v69, v29, v31
	v_add_f32_e32 v90, v75, v61
	v_sub_f32_e32 v61, v61, v75
	v_sub_f32_e32 v72, v87, v162
	;; [unrolled: 3-line block ×3, first 2 shown]
	v_sub_f32_e32 v74, v73, v90
	v_add_f32_e32 v76, v69, v61
	v_sub_f32_e32 v79, v61, v69
	v_sub_f32_e32 v60, v62, v60
	;; [unrolled: 1-line block ×3, first 2 shown]
	v_mul_f32_e32 v156, 0x3f4a47b2, v72
	v_mul_f32_e32 v88, 0xbf08b237, v78
	;; [unrolled: 1-line block ×3, first 2 shown]
	v_sub_f32_e32 v61, v63, v61
	v_add_f32_e32 v62, v62, v75
	v_mul_f32_e32 v82, 0x3f4a47b2, v74
	v_mul_f32_e32 v160, 0xbf08b237, v79
	;; [unrolled: 1-line block ×3, first 2 shown]
	v_fma_f32 v78, v68, s4, -v88
	v_fmac_f32_e32 v88, 0x3eae86e6, v60
	v_fma_f32 v89, v60, s1, -v72
	s_waitcnt vmcnt(21)
	v_add_f32_e32 v79, v70, v52
	v_sub_f32_e32 v52, v52, v70
	v_sub_f32_e32 v60, v22, v24
	v_add_f32_e32 v152, v66, v50
	v_sub_f32_e32 v50, v50, v66
	v_add_f32_e32 v63, v63, v76
	v_mul_f32_e32 v86, 0x3ee1c552, v62
	v_fma_f32 v154, v69, s4, -v160
	v_fmac_f32_e32 v160, 0x3eae86e6, v61
	v_fma_f32 v161, v61, s1, -v74
	v_fmac_f32_e32 v78, 0x3ee1c552, v62
	v_sub_f32_e32 v61, v23, v25
	v_add_f32_e32 v76, v67, v51
	v_sub_f32_e32 v51, v51, v67
	v_sub_f32_e32 v62, v79, v152
	v_add_f32_e32 v66, v60, v50
	v_sub_f32_e32 v68, v50, v60
	;; [unrolled: 3-line block ×3, first 2 shown]
	v_sub_f32_e32 v71, v51, v61
	v_sub_f32_e32 v50, v52, v50
	v_mul_f32_e32 v146, 0x3f4a47b2, v62
	v_mul_f32_e32 v74, 0xbf08b237, v68
	;; [unrolled: 1-line block ×4, first 2 shown]
	v_fmac_f32_e32 v154, 0x3ee1c552, v63
	v_sub_f32_e32 v63, v69, v76
	v_add_f32_e32 v67, v61, v51
	v_sub_f32_e32 v61, v61, v53
	v_mul_f32_e32 v150, 0xbf08b237, v71
	v_fma_f32 v68, v60, s4, -v74
	v_fmac_f32_e32 v74, 0x3eae86e6, v50
	v_fma_f32 v75, v50, s1, -v62
	s_waitcnt vmcnt(15)
	v_sub_f32_e32 v50, v16, v18
	v_add_f32_e32 v142, v56, v46
	v_sub_f32_e32 v46, v46, v56
	v_sub_f32_e32 v51, v53, v51
	v_add_f32_e32 v53, v53, v67
	v_mul_f32_e32 v70, 0x3f4a47b2, v63
	v_mul_f32_e32 v63, 0x3f5ff5aa, v61
	v_fma_f32 v144, v61, s4, -v150
	s_waitcnt vmcnt(14)
	v_add_f32_e32 v67, v58, v44
	v_add_f32_e32 v61, v59, v45
	v_sub_f32_e32 v44, v44, v58
	v_sub_f32_e32 v45, v45, v59
	;; [unrolled: 1-line block ×3, first 2 shown]
	v_add_f32_e32 v52, v52, v66
	v_fmac_f32_e32 v150, 0x3eae86e6, v51
	v_fma_f32 v151, v51, s1, -v63
	v_sub_f32_e32 v51, v17, v19
	v_add_f32_e32 v66, v57, v47
	v_sub_f32_e32 v47, v47, v57
	v_add_f32_e32 v56, v50, v46
	v_sub_f32_e32 v50, v50, v44
	v_mul_f32_e32 v62, 0xbf08b237, v59
	v_mul_f32_e32 v72, 0x3ee1c552, v52
	;; [unrolled: 1-line block ×3, first 2 shown]
	v_fmac_f32_e32 v68, 0x3ee1c552, v52
	v_fmac_f32_e32 v144, 0x3ee1c552, v53
	v_sub_f32_e32 v52, v67, v142
	v_sub_f32_e32 v53, v61, v66
	v_add_f32_e32 v57, v51, v47
	v_sub_f32_e32 v63, v47, v51
	v_sub_f32_e32 v46, v44, v46
	;; [unrolled: 1-line block ×3, first 2 shown]
	v_add_f32_e32 v44, v44, v56
	v_fma_f32 v56, v50, s4, -v62
	v_sub_f32_e32 v47, v45, v47
	v_mul_f32_e32 v136, 0x3f4a47b2, v52
	v_mul_f32_e32 v58, 0x3f4a47b2, v53
	;; [unrolled: 1-line block ×6, first 2 shown]
	v_fmac_f32_e32 v56, 0x3ee1c552, v44
	s_waitcnt vmcnt(8)
	v_sub_f32_e32 v44, v6, v12
	v_add_f32_e32 v132, v48, v40
	v_sub_f32_e32 v40, v40, v48
	v_add_f32_e32 v45, v45, v57
	v_fma_f32 v134, v51, s4, -v140
	v_fmac_f32_e32 v140, 0x3eae86e6, v47
	v_fma_f32 v63, v46, s1, -v52
	v_fma_f32 v141, v47, s1, -v53
	s_waitcnt vmcnt(7)
	v_add_f32_e32 v51, v54, v42
	v_add_f32_e32 v47, v55, v43
	v_sub_f32_e32 v42, v42, v54
	v_add_f32_e32 v54, v49, v41
	v_sub_f32_e32 v52, v40, v44
	v_mul_f32_e32 v138, 0x3ee1c552, v45
	v_fmac_f32_e32 v62, 0x3eae86e6, v46
	v_fmac_f32_e32 v134, 0x3ee1c552, v45
	v_sub_f32_e32 v43, v43, v55
	v_sub_f32_e32 v45, v7, v13
	;; [unrolled: 1-line block ×5, first 2 shown]
	v_add_f32_e32 v49, v44, v40
	v_sub_f32_e32 v44, v44, v42
	v_mul_f32_e32 v52, 0xbf08b237, v52
	v_add_f32_e32 v50, v45, v41
	v_sub_f32_e32 v53, v41, v45
	v_sub_f32_e32 v40, v42, v40
	;; [unrolled: 1-line block ×3, first 2 shown]
	v_add_f32_e32 v42, v42, v49
	v_mul_f32_e32 v126, 0x3f4a47b2, v46
	v_mul_f32_e32 v46, 0x3f4a47b2, v48
	v_fma_f32 v48, v44, s4, -v52
	v_sub_f32_e32 v41, v43, v41
	v_add_f32_e32 v43, v43, v50
	v_mul_f32_e32 v50, 0x3ee1c552, v42
	v_mul_f32_e32 v130, 0xbf08b237, v53
	;; [unrolled: 1-line block ×4, first 2 shown]
	v_fmac_f32_e32 v48, 0x3ee1c552, v42
	s_waitcnt vmcnt(1)
	v_sub_f32_e32 v42, v1, v11
	v_add_f32_e32 v44, v95, v37
	v_sub_f32_e32 v37, v37, v95
	v_add_f32_e32 v184, v92, v84
	v_fma_f32 v124, v45, s4, -v130
	v_fmac_f32_e32 v130, 0x3eae86e6, v41
	v_fma_f32 v131, v41, s1, -v55
	s_waitcnt vmcnt(0)
	v_add_f32_e32 v41, v105, v39
	v_sub_f32_e32 v39, v39, v105
	v_sub_f32_e32 v71, v37, v42
	v_add_f32_e32 v185, v109, v184
	v_fmac_f32_e32 v52, 0x3eae86e6, v40
	v_fma_f32 v53, v40, s1, -v49
	v_add_f32_e32 v45, v104, v38
	v_sub_f32_e32 v38, v38, v104
	v_sub_f32_e32 v40, v0, v10
	v_add_f32_e32 v112, v94, v36
	v_sub_f32_e32 v36, v36, v94
	v_sub_f32_e32 v49, v41, v44
	v_add_f32_e32 v57, v42, v37
	v_sub_f32_e32 v94, v42, v39
	v_mul_f32_e32 v110, 0xbf08b237, v71
	v_pk_add_f32 v[186:187], v[182:183], v[184:185] neg_lo:[0,1] neg_hi:[0,1]
	v_pk_add_f32 v[182:183], v[182:183], v[184:185] op_sel_hi:[0,1]
	s_mov_b32 s16, 0x3d64c772
	v_add_f32_e32 v55, v40, v36
	v_sub_f32_e32 v59, v36, v40
	v_sub_f32_e32 v83, v38, v36
	;; [unrolled: 1-line block ×3, first 2 shown]
	v_add_f32_e32 v39, v39, v57
	v_mul_f32_e32 v36, 0x3f4a47b2, v49
	v_mul_f32_e32 v49, 0x3f5ff5aa, v94
	v_fma_f32 v94, v94, s4, -v110
	v_mov_b32_e32 v182, v186
	v_add_f32_e32 v177, v183, v80
	s_mov_b32 s17, 0x3f955555
	v_mul_f32_e32 v108, 0x3ee1c552, v39
	v_fmac_f32_e32 v94, 0x3ee1c552, v39
	v_sub_f32_e32 v39, v184, v109
	v_pk_mul_f32 v[184:185], v[186:187], s[16:17]
	v_pk_fma_f32 v[186:187], v[182:183], s[16:17], v[176:177]
	v_pk_fma_f32 v[182:183], v[182:183], s[16:17], v[176:177] neg_lo:[1,0,0] neg_hi:[1,0,0]
	s_mov_b32 s14, 0x3f3bfb3b
	s_mov_b32 s5, 0xbf3bfb3b
	v_fma_f32 v111, v37, s1, -v49
	v_mov_b32_e32 v187, v183
	v_fma_f32 v49, v39, s14, -v184
	v_fma_f32 v185, v39, s5, -v176
	v_mov_b32_e32 v184, v183
	v_fmac_f32_e32 v110, 0x3eae86e6, v37
	v_mad_u32_u24 v37, v159, 28, 0
	v_add_f32_e32 v80, v49, v183
	v_pk_add_f32 v[182:183], v[186:187], v[184:185]
	v_pk_add_f32 v[178:179], v[180:181], v[178:179] op_sel_hi:[1,0]
	v_pk_add_f32 v[180:181], v[182:183], v[178:179]
	ds_write_b32 v37, v177
	ds_write2_b32 v37, v180, v181 offset0:1 offset1:2
	v_pk_add_f32 v[176:177], v[80:81], v[174:175] neg_lo:[0,1] neg_hi:[0,1]
	v_pk_add_f32 v[174:175], v[80:81], v[174:175]
	ds_write2_b32 v37, v176, v174 offset0:3 offset1:4
	v_add_f32_e32 v176, v64, v34
	v_add_f32_e32 v177, v101, v176
	v_pk_add_f32 v[174:175], v[182:183], v[178:179] neg_lo:[0,1] neg_hi:[0,1]
	v_sub_f32_e32 v34, v176, v101
	v_pk_add_f32 v[178:179], v[172:173], v[176:177] neg_lo:[0,1] neg_hi:[0,1]
	v_pk_add_f32 v[176:177], v[172:173], v[176:177] op_sel_hi:[0,1]
	v_mov_b32_e32 v176, v178
	v_add_f32_e32 v167, v177, v32
	v_pk_mul_f32 v[178:179], v[178:179], s[16:17]
	v_pk_fma_f32 v[180:181], v[176:177], s[16:17], v[166:167]
	v_pk_fma_f32 v[176:177], v[176:177], s[16:17], v[166:167] neg_lo:[1,0,0] neg_hi:[1,0,0]
	v_mov_b32_e32 v181, v177
	v_fma_f32 v32, v34, s14, -v178
	v_fma_f32 v179, v34, s5, -v166
	v_mov_b32_e32 v178, v177
	v_add_f32_e32 v32, v32, v177
	v_pk_add_f32 v[176:177], v[180:181], v[178:179]
	v_pk_add_f32 v[170:171], v[170:171], v[168:169] op_sel_hi:[1,0]
	ds_write2_b32 v37, v175, v174 offset0:5 offset1:6
	v_mad_i32_i24 v174, v97, 28, 0
	v_pk_add_f32 v[178:179], v[176:177], v[170:171]
	ds_write_b32 v174, v167
	ds_write2_b32 v174, v178, v179 offset0:1 offset1:2
	v_pk_add_f32 v[166:167], v[32:33], v[164:165] neg_lo:[0,1] neg_hi:[0,1]
	v_pk_add_f32 v[178:179], v[32:33], v[164:165]
	ds_write2_b32 v174, v166, v178 offset0:3 offset1:4
	v_pk_add_f32 v[166:167], v[176:177], v[170:171] neg_lo:[0,1] neg_hi:[0,1]
	ds_write2_b32 v174, v167, v166 offset0:5 offset1:6
	v_add_f32_e32 v166, v30, v28
	v_add_f32_e32 v167, v87, v166
	v_sub_f32_e32 v28, v166, v87
	v_pk_add_f32 v[170:171], v[162:163], v[166:167] neg_lo:[0,1] neg_hi:[0,1]
	v_pk_add_f32 v[166:167], v[162:163], v[166:167] op_sel_hi:[0,1]
	v_mov_b32_e32 v166, v170
	v_add_f32_e32 v157, v167, v26
	v_pk_mul_f32 v[170:171], v[170:171], s[16:17]
	v_pk_fma_f32 v[176:177], v[166:167], s[16:17], v[156:157]
	v_pk_fma_f32 v[166:167], v[166:167], s[16:17], v[156:157] neg_lo:[1,0,0] neg_hi:[1,0,0]
	v_mov_b32_e32 v177, v167
	v_fma_f32 v26, v28, s14, -v170
	v_fma_f32 v171, v28, s5, -v156
	v_mov_b32_e32 v170, v167
	v_mad_i32_i24 v164, v119, 28, 0
	v_add_f32_e32 v26, v26, v167
	v_pk_add_f32 v[166:167], v[176:177], v[170:171]
	v_pk_add_f32 v[160:161], v[160:161], v[158:159] op_sel_hi:[1,0]
	v_pk_add_f32 v[170:171], v[166:167], v[160:161]
	ds_write_b32 v164, v157
	ds_write2_b32 v164, v170, v171 offset0:1 offset1:2
	v_pk_add_f32 v[156:157], v[26:27], v[154:155] neg_lo:[0,1] neg_hi:[0,1]
	v_pk_add_f32 v[154:155], v[26:27], v[154:155]
	ds_write2_b32 v164, v156, v154 offset0:3 offset1:4
	v_pk_add_f32 v[154:155], v[166:167], v[160:161] neg_lo:[0,1] neg_hi:[0,1]
	ds_write2_b32 v164, v155, v154 offset0:5 offset1:6
	v_add_f32_e32 v154, v24, v22
	v_add_f32_e32 v155, v79, v154
	v_pk_add_f32 v[160:161], v[152:153], v[154:155] neg_lo:[0,1] neg_hi:[0,1]
	v_pk_add_f32 v[152:153], v[152:153], v[154:155] op_sel_hi:[0,1]
	v_mov_b32_e32 v152, v160
	v_add_f32_e32 v147, v153, v20
	v_sub_f32_e32 v22, v154, v79
	v_pk_mul_f32 v[154:155], v[160:161], s[16:17]
	v_pk_fma_f32 v[160:161], v[152:153], s[16:17], v[146:147]
	v_pk_fma_f32 v[152:153], v[152:153], s[16:17], v[146:147] neg_lo:[1,0,0] neg_hi:[1,0,0]
	v_mov_b32_e32 v161, v153
	v_fma_f32 v20, v22, s14, -v154
	v_fma_f32 v155, v22, s5, -v146
	v_mov_b32_e32 v154, v153
	v_mad_i32_i24 v156, v163, 28, 0
	v_add_f32_e32 v20, v20, v153
	v_pk_add_f32 v[152:153], v[160:161], v[154:155]
	v_pk_add_f32 v[148:149], v[150:151], v[148:149] op_sel_hi:[1,0]
	v_pk_add_f32 v[150:151], v[152:153], v[148:149]
	ds_write_b32 v156, v147
	ds_write2_b32 v156, v150, v151 offset0:1 offset1:2
	v_pk_add_f32 v[146:147], v[20:21], v[144:145] neg_lo:[0,1] neg_hi:[0,1]
	v_pk_add_f32 v[144:145], v[20:21], v[144:145]
	ds_write2_b32 v156, v146, v144 offset0:3 offset1:4
	v_pk_add_f32 v[144:145], v[152:153], v[148:149] neg_lo:[0,1] neg_hi:[0,1]
	ds_write2_b32 v156, v145, v144 offset0:5 offset1:6
	v_add_f32_e32 v144, v18, v16
	v_add_f32_e32 v145, v67, v144
	v_pk_add_f32 v[146:147], v[142:143], v[144:145] neg_lo:[0,1] neg_hi:[0,1]
	v_pk_add_f32 v[142:143], v[142:143], v[144:145] op_sel_hi:[0,1]
	v_mov_b32_e32 v142, v146
	v_add_f32_e32 v137, v143, v14
	v_sub_f32_e32 v16, v144, v67
	;; [unrolled: 26-line block ×3, first 2 shown]
	v_pk_mul_f32 v[134:135], v[136:137], s[16:17]
	v_pk_fma_f32 v[136:137], v[132:133], s[16:17], v[126:127]
	v_pk_fma_f32 v[132:133], v[132:133], s[16:17], v[126:127] neg_lo:[1,0,0] neg_hi:[1,0,0]
	v_mul_f32_e32 v128, 0x3ee1c552, v43
	v_mov_b32_e32 v137, v133
	v_fma_f32 v2, v6, s14, -v134
	v_fma_f32 v135, v6, s5, -v126
	v_mov_b32_e32 v134, v133
	v_fmac_f32_e32 v124, 0x3ee1c552, v43
	v_mad_i32_i24 v158, v169, 28, 0
	v_add_f32_e32 v2, v2, v133
	v_pk_add_f32 v[132:133], v[136:137], v[134:135]
	v_pk_add_f32 v[128:129], v[130:131], v[128:129] op_sel_hi:[1,0]
	v_pk_add_f32 v[130:131], v[132:133], v[128:129]
	ds_write_b32 v158, v127
	ds_write2_b32 v158, v130, v131 offset0:1 offset1:2
	v_pk_add_f32 v[126:127], v[2:3], v[124:125] neg_lo:[0,1] neg_hi:[0,1]
	v_pk_add_f32 v[124:125], v[2:3], v[124:125]
	ds_write2_b32 v158, v126, v124 offset0:3 offset1:4
	v_pk_add_f32 v[124:125], v[132:133], v[128:129] neg_lo:[0,1] neg_hi:[0,1]
	ds_write2_b32 v158, v125, v124 offset0:5 offset1:6
	v_add_f32_e32 v124, v10, v0
	v_add_f32_e32 v125, v45, v124
	v_sub_f32_e32 v43, v45, v112
	v_pk_add_f32 v[126:127], v[112:113], v[124:125] neg_lo:[0,1] neg_hi:[0,1]
	v_pk_add_f32 v[112:113], v[112:113], v[124:125] op_sel_hi:[0,1]
	v_mul_f32_e32 v104, 0x3f4a47b2, v43
	v_mov_b32_e32 v112, v126
	v_add_f32_e32 v105, v113, v8
	v_sub_f32_e32 v0, v124, v45
	v_pk_mul_f32 v[124:125], v[126:127], s[16:17]
	v_pk_fma_f32 v[126:127], v[112:113], s[16:17], v[104:105]
	v_pk_fma_f32 v[112:113], v[112:113], s[16:17], v[104:105] neg_lo:[1,0,0] neg_hi:[1,0,0]
	v_mov_b32_e32 v127, v113
	v_fma_f32 v2, v0, s14, -v124
	v_fma_f32 v125, v0, s5, -v104
	v_mov_b32_e32 v124, v113
	v_add_f32_e32 v180, v93, v85
	v_mad_i32_i24 v171, v173, 28, 0
	v_add_f32_e32 v0, v2, v113
	v_pk_add_f32 v[112:113], v[126:127], v[124:125]
	v_pk_add_f32 v[108:109], v[110:111], v[108:109] op_sel_hi:[1,0]
	v_add_f32_e32 v181, v99, v180
	v_pk_add_f32 v[110:111], v[112:113], v[108:109]
	ds_write_b32 v171, v105
	ds_write2_b32 v171, v110, v111 offset0:1 offset1:2
	v_pk_add_f32 v[104:105], v[0:1], v[94:95] neg_lo:[0,1] neg_hi:[0,1]
	v_pk_add_f32 v[94:95], v[0:1], v[94:95]
	v_sub_f32_e32 v0, v180, v99
	v_pk_add_f32 v[182:183], v[118:119], v[180:181] neg_lo:[0,1] neg_hi:[0,1]
	v_pk_add_f32 v[180:181], v[118:119], v[180:181] op_sel_hi:[0,1]
	v_mov_b32_e32 v180, v182
	v_add_f32_e32 v117, v181, v81
	v_pk_mul_f32 v[182:183], v[182:183], s[16:17]
	v_pk_fma_f32 v[184:185], v[180:181], s[16:17], v[116:117]
	v_pk_fma_f32 v[180:181], v[180:181], s[16:17], v[116:117] neg_lo:[1,0,0] neg_hi:[1,0,0]
	s_movk_i32 s11, 0xffe8
	v_mov_b32_e32 v185, v181
	v_fma_f32 v2, v0, s14, -v182
	v_fma_f32 v183, v0, s5, -v116
	v_mov_b32_e32 v182, v181
	v_sub_f32_e32 v91, v40, v38
	v_mul_f32_e32 v42, 0xbf08b237, v59
	v_mad_i32_i24 v115, v159, s11, v37
	v_add_f32_e32 v0, v2, v181
	v_pk_add_f32 v[180:181], v[184:185], v[182:183]
	v_pk_add_f32 v[122:123], v[122:123], v[120:121] op_sel_hi:[1,0]
	v_add_f32_e32 v55, v38, v55
	v_mul_f32_e32 v43, 0x3f5ff5aa, v91
	v_fma_f32 v38, v91, s4, -v42
	ds_write2_b32 v171, v104, v94 offset0:3 offset1:4
	v_pk_add_f32 v[94:95], v[112:113], v[108:109] neg_lo:[0,1] neg_hi:[0,1]
	v_add_u32_e32 v168, 0x400, v115
	v_add_u32_e32 v170, 0x800, v115
	;; [unrolled: 1-line block ×6, first 2 shown]
	v_mad_i32_i24 v84, v97, s11, v174
	v_add_u32_e32 v175, 0xa00, v115
	v_add_u32_e32 v160, 0x2000, v115
	v_mad_i32_i24 v80, v119, s11, v164
	v_add_u32_e32 v167, 0x1c00, v115
	v_mad_i32_i24 v178, v163, s11, v156
	v_add_u32_e32 v161, 0xc00, v115
	v_add_u32_e32 v162, 0x1600, v115
	v_mad_i32_i24 v177, v165, s11, v157
	v_mad_i32_i24 v107, v169, s11, v158
	v_add_u32_e32 v91, 0x2200, v115
	v_mad_i32_i24 v87, v173, s11, v171
	v_pk_add_f32 v[182:183], v[180:181], v[122:123] neg_lo:[0,1] neg_hi:[0,1]
	v_mul_f32_e32 v40, 0x3ee1c552, v55
	v_fmac_f32_e32 v38, 0x3ee1c552, v55
	ds_write2_b32 v171, v95, v94 offset0:5 offset1:6
	s_waitcnt lgkmcnt(0)
	; wave barrier
	s_waitcnt lgkmcnt(0)
	ds_read_b32 v67, v115
	ds_read_b32 v64, v84
	ds_read2_b32 v[154:155], v168 offset0:87 offset1:136
	ds_read2_b32 v[112:113], v170 offset0:125 offset1:174
	;; [unrolled: 1-line block ×9, first 2 shown]
	ds_read_b32 v57, v80
	ds_read2_b32 v[142:143], v168 offset0:185 offset1:234
	ds_read2_b32 v[140:141], v166 offset0:103 offset1:152
	ds_read2_b32 v[138:139], v167 offset0:21 offset1:70
	ds_read_b32 v55, v178
	ds_read2_b32 v[136:137], v161 offset0:65 offset1:114
	ds_read2_b32 v[134:135], v162 offset0:111 offset1:160
	ds_read2_b32 v[132:133], v160 offset0:157 offset1:206
	;; [unrolled: 4-line block ×4, first 2 shown]
	ds_read_b32 v45, v87
	s_waitcnt lgkmcnt(0)
	; wave barrier
	s_waitcnt lgkmcnt(0)
	ds_write_b32 v37, v117
	ds_write2_b32 v37, v182, v183 offset0:1 offset1:2
	v_pk_add_f32 v[116:117], v[0:1], v[114:115]
	v_pk_add_f32 v[182:183], v[0:1], v[114:115] neg_lo:[0,1] neg_hi:[0,1]
	v_add_f32_e32 v34, v65, v35
	ds_write2_b32 v37, v116, v182 offset0:3 offset1:4
	v_pk_add_f32 v[116:117], v[122:123], v[180:181]
	v_add_f32_e32 v35, v77, v34
	v_mov_b32_e32 v39, v116
	ds_write2_b32 v37, v117, v116 offset0:5 offset1:6
	v_sub_f32_e32 v0, v34, v77
	v_pk_add_f32 v[116:117], v[106:107], v[34:35] neg_lo:[0,1] neg_hi:[0,1]
	v_pk_add_f32 v[34:35], v[106:107], v[34:35] op_sel_hi:[0,1]
	v_mov_b32_e32 v34, v116
	v_add_f32_e32 v99, v35, v33
	v_pk_mul_f32 v[32:33], v[116:117], s[16:17]
	v_pk_fma_f32 v[116:117], v[34:35], s[16:17], v[98:99]
	v_pk_fma_f32 v[34:35], v[34:35], s[16:17], v[98:99] neg_lo:[1,0,0] neg_hi:[1,0,0]
	v_mov_b32_e32 v117, v35
	v_fma_f32 v2, v0, s14, -v32
	v_fma_f32 v33, v0, s5, -v98
	v_mov_b32_e32 v32, v35
	v_add_f32_e32 v0, v2, v35
	v_pk_add_f32 v[32:33], v[116:117], v[32:33]
	v_pk_add_f32 v[34:35], v[102:103], v[100:101] op_sel_hi:[1,0]
	v_add_f32_e32 v28, v31, v29
	v_pk_add_f32 v[100:101], v[32:33], v[34:35] neg_lo:[0,1] neg_hi:[0,1]
	v_add_f32_e32 v29, v73, v28
	ds_write_b32 v174, v99
	ds_write2_b32 v174, v100, v101 offset0:1 offset1:2
	v_pk_add_f32 v[98:99], v[0:1], v[96:97]
	v_pk_add_f32 v[100:101], v[0:1], v[96:97] neg_lo:[0,1] neg_hi:[0,1]
	v_sub_f32_e32 v0, v28, v73
	v_pk_add_f32 v[30:31], v[90:91], v[28:29] neg_lo:[0,1] neg_hi:[0,1]
	v_pk_add_f32 v[28:29], v[90:91], v[28:29] op_sel_hi:[0,1]
	v_fmac_f32_e32 v42, 0x3eae86e6, v83
	v_fma_f32 v43, v83, s1, -v43
	v_mov_b32_e32 v28, v30
	v_add_f32_e32 v83, v29, v27
	v_pk_mul_f32 v[26:27], v[30:31], s[16:17]
	v_pk_fma_f32 v[30:31], v[28:29], s[16:17], v[82:83]
	v_pk_fma_f32 v[28:29], v[28:29], s[16:17], v[82:83] neg_lo:[1,0,0] neg_hi:[1,0,0]
	v_mov_b32_e32 v31, v29
	v_fma_f32 v2, v0, s14, -v26
	v_fma_f32 v27, v0, s5, -v82
	v_mov_b32_e32 v26, v29
	v_add_f32_e32 v0, v2, v29
	v_pk_add_f32 v[26:27], v[30:31], v[26:27]
	v_pk_add_f32 v[28:29], v[88:89], v[86:87] op_sel_hi:[1,0]
	v_add_f32_e32 v22, v25, v23
	v_pk_add_f32 v[32:33], v[34:35], v[32:33]
	v_pk_add_f32 v[30:31], v[26:27], v[28:29] neg_lo:[0,1] neg_hi:[0,1]
	v_add_f32_e32 v23, v69, v22
	ds_write2_b32 v174, v98, v100 offset0:3 offset1:4
	ds_write2_b32 v174, v33, v32 offset0:5 offset1:6
	ds_write_b32 v164, v83
	ds_write2_b32 v164, v30, v31 offset0:1 offset1:2
	v_pk_add_f32 v[30:31], v[0:1], v[78:79]
	v_pk_add_f32 v[32:33], v[0:1], v[78:79] neg_lo:[0,1] neg_hi:[0,1]
	v_sub_f32_e32 v0, v22, v69
	v_pk_add_f32 v[24:25], v[76:77], v[22:23] neg_lo:[0,1] neg_hi:[0,1]
	v_pk_add_f32 v[22:23], v[76:77], v[22:23] op_sel_hi:[0,1]
	v_mov_b32_e32 v22, v24
	v_add_f32_e32 v71, v23, v21
	v_pk_mul_f32 v[20:21], v[24:25], s[16:17]
	v_pk_fma_f32 v[24:25], v[22:23], s[16:17], v[70:71]
	v_pk_fma_f32 v[22:23], v[22:23], s[16:17], v[70:71] neg_lo:[1,0,0] neg_hi:[1,0,0]
	v_mov_b32_e32 v25, v23
	v_fma_f32 v2, v0, s14, -v20
	v_fma_f32 v21, v0, s5, -v70
	v_mov_b32_e32 v20, v23
	v_add_f32_e32 v0, v2, v23
	v_pk_add_f32 v[20:21], v[24:25], v[20:21]
	v_pk_add_f32 v[22:23], v[74:75], v[72:73] op_sel_hi:[1,0]
	v_add_f32_e32 v16, v19, v17
	v_pk_add_f32 v[26:27], v[28:29], v[26:27]
	v_pk_add_f32 v[24:25], v[20:21], v[22:23] neg_lo:[0,1] neg_hi:[0,1]
	v_add_f32_e32 v17, v61, v16
	ds_write2_b32 v164, v30, v32 offset0:3 offset1:4
	ds_write2_b32 v164, v27, v26 offset0:5 offset1:6
	ds_write_b32 v156, v71
	ds_write2_b32 v156, v24, v25 offset0:1 offset1:2
	v_pk_add_f32 v[24:25], v[0:1], v[68:69]
	v_pk_add_f32 v[26:27], v[0:1], v[68:69] neg_lo:[0,1] neg_hi:[0,1]
	v_sub_f32_e32 v0, v16, v61
	v_pk_add_f32 v[18:19], v[66:67], v[16:17] neg_lo:[0,1] neg_hi:[0,1]
	v_pk_add_f32 v[16:17], v[66:67], v[16:17] op_sel_hi:[0,1]
	;; [unrolled: 25-line block ×3, first 2 shown]
	v_mov_b32_e32 v6, v12
	v_add_f32_e32 v47, v7, v3
	v_pk_mul_f32 v[2:3], v[12:13], s[16:17]
	v_pk_fma_f32 v[12:13], v[6:7], s[16:17], v[46:47]
	v_pk_fma_f32 v[6:7], v[6:7], s[16:17], v[46:47] neg_lo:[1,0,0] neg_hi:[1,0,0]
	v_fma_f32 v2, v0, s14, -v2
	v_mov_b32_e32 v13, v7
	v_fma_f32 v3, v0, s5, -v46
	v_add_f32_e32 v0, v2, v7
	v_mov_b32_e32 v2, v7
	v_pk_add_f32 v[2:3], v[12:13], v[2:3]
	v_pk_add_f32 v[6:7], v[52:53], v[50:51] op_sel_hi:[1,0]
	v_pk_add_f32 v[14:15], v[16:17], v[14:15]
	v_pk_add_f32 v[12:13], v[2:3], v[6:7] neg_lo:[0,1] neg_hi:[0,1]
	ds_write2_b32 v157, v18, v20 offset0:3 offset1:4
	ds_write2_b32 v157, v15, v14 offset0:5 offset1:6
	ds_write_b32 v158, v47
	ds_write2_b32 v158, v12, v13 offset0:1 offset1:2
	v_pk_add_f32 v[12:13], v[0:1], v[48:49]
	v_pk_add_f32 v[14:15], v[0:1], v[48:49] neg_lo:[0,1] neg_hi:[0,1]
	v_add_f32_e32 v0, v11, v1
	v_pk_add_f32 v[2:3], v[6:7], v[2:3]
	v_add_f32_e32 v1, v41, v0
	ds_write2_b32 v158, v3, v2 offset0:5 offset1:6
	v_sub_f32_e32 v8, v0, v41
	v_pk_add_f32 v[2:3], v[44:45], v[0:1] neg_lo:[0,1] neg_hi:[0,1]
	v_pk_add_f32 v[0:1], v[44:45], v[0:1] op_sel_hi:[0,1]
	v_mov_b32_e32 v0, v2
	v_add_f32_e32 v37, v1, v9
	v_pk_mul_f32 v[2:3], v[2:3], s[16:17]
	v_pk_fma_f32 v[6:7], v[0:1], s[16:17], v[36:37]
	v_pk_fma_f32 v[0:1], v[0:1], s[16:17], v[36:37] neg_lo:[1,0,0] neg_hi:[1,0,0]
	v_mov_b32_e32 v7, v1
	v_fma_f32 v0, v8, s14, -v2
	v_fma_f32 v3, v8, s5, -v36
	v_mov_b32_e32 v2, v1
	v_mov_b32_e32 v90, 37
	v_pk_add_f32 v[2:3], v[6:7], v[2:3]
	v_pk_add_f32 v[6:7], v[42:43], v[40:41] op_sel_hi:[1,0]
	v_mul_lo_u16_sdwa v42, v159, v90 dst_sel:DWORD dst_unused:UNUSED_PAD src0_sel:BYTE_0 src1_sel:DWORD
	v_sub_u16_sdwa v43, v159, v42 dst_sel:DWORD dst_unused:UNUSED_PAD src0_sel:DWORD src1_sel:BYTE_1
	v_lshrrev_b16_e32 v43, 1, v43
	v_and_b32_e32 v43, 0x7f, v43
	v_add_u16_sdwa v42, v43, v42 dst_sel:DWORD dst_unused:UNUSED_PAD src0_sel:DWORD src1_sel:BYTE_1
	v_lshrrev_b16_e32 v42, 2, v42
	v_mul_lo_u16_e32 v43, 7, v42
	v_add_f32_e32 v0, v0, v1
	v_pk_add_f32 v[8:9], v[2:3], v[6:7] neg_lo:[0,1] neg_hi:[0,1]
	v_sub_u16_e32 v43, v159, v43
	v_mov_b32_e32 v93, 6
	ds_write2_b32 v158, v12, v14 offset0:3 offset1:4
	ds_write_b32 v171, v37
	ds_write2_b32 v171, v8, v9 offset0:1 offset1:2
	v_pk_add_f32 v[8:9], v[0:1], v[38:39]
	v_pk_add_f32 v[0:1], v[0:1], v[38:39] neg_lo:[0,1] neg_hi:[0,1]
	v_mul_u32_u24_sdwa v54, v43, v93 dst_sel:DWORD dst_unused:UNUSED_PAD src0_sel:BYTE_0 src1_sel:DWORD
	ds_write2_b32 v171, v8, v0 offset0:3 offset1:4
	v_pk_add_f32 v[0:1], v[6:7], v[2:3]
	v_lshlrev_b32_e32 v54, 3, v54
	ds_write2_b32 v171, v1, v0 offset0:5 offset1:6
	s_waitcnt lgkmcnt(0)
	; wave barrier
	s_waitcnt lgkmcnt(0)
	ds_read_b32 v53, v115
	ds_read2_b32 v[78:79], v168 offset0:87 offset1:136
	ds_read2_b32 v[14:15], v170 offset0:125 offset1:174
	;; [unrolled: 1-line block ×6, first 2 shown]
	ds_read_b32 v48, v84
	ds_read2_b32 v[36:37], v175 offset0:95 offset1:144
	ds_read2_b32 v[34:35], v172 offset0:141 offset1:190
	ds_read2_b32 v[32:33], v160 offset0:59 offset1:108
	ds_read_b32 v52, v80
	ds_read2_b32 v[30:31], v168 offset0:185 offset1:234
	ds_read2_b32 v[28:29], v166 offset0:103 offset1:152
	ds_read2_b32 v[26:27], v167 offset0:21 offset1:70
	;; [unrolled: 4-line block ×5, first 2 shown]
	ds_read_b32 v44, v87
	global_load_dwordx4 v[58:61], v54, s[8:9] offset:32
	global_load_dwordx4 v[74:77], v54, s[8:9] offset:16
	global_load_dwordx4 v[98:101], v54, s[8:9]
	s_movk_i32 s11, 0x2493
	v_mul_u32_u24_e32 v42, 0xc4, v42
	s_mov_b32 s6, 0x3eae86e6
	s_mov_b32 s10, 0x3f4a47b2
	;; [unrolled: 1-line block ×4, first 2 shown]
	s_waitcnt vmcnt(2)
	v_mul_f32_e32 v85, v95, v61
	s_waitcnt vmcnt(1)
	v_mul_f32_e32 v68, v109, v77
	s_waitcnt vmcnt(0) lgkmcnt(14)
	v_mul_f32_e32 v54, v78, v99
	v_mul_f32_e32 v70, v113, v101
	v_fma_f32 v71, v154, v98, -v54
	v_mul_f32_e32 v54, v15, v101
	v_fmac_f32_e32 v70, v15, v100
	v_mul_f32_e32 v15, v40, v75
	v_fma_f32 v63, v152, v74, -v15
	v_mul_f32_e32 v15, v11, v77
	v_fmac_f32_e32 v68, v11, v76
	;; [unrolled: 4-line block ×3, first 2 shown]
	v_mul_lo_u16_sdwa v7, v97, v90 dst_sel:DWORD dst_unused:UNUSED_PAD src0_sel:BYTE_0 src1_sel:DWORD
	v_fma_f32 v83, v95, v60, -v11
	v_sub_u16_sdwa v11, v97, v7 dst_sel:DWORD dst_unused:UNUSED_PAD src0_sel:DWORD src1_sel:BYTE_1
	v_lshrrev_b16_e32 v11, 1, v11
	v_and_b32_e32 v11, 0x7f, v11
	v_add_u16_sdwa v7, v11, v7 dst_sel:DWORD dst_unused:UNUSED_PAD src0_sel:DWORD src1_sel:BYTE_1
	v_lshrrev_b16_e32 v7, 2, v7
	v_mul_lo_u16_e32 v11, 7, v7
	v_sub_u16_e32 v11, v97, v11
	v_mul_f32_e32 v72, v154, v99
	v_fma_f32 v66, v109, v76, -v15
	v_mul_u32_u24_sdwa v15, v11, v93 dst_sel:DWORD dst_unused:UNUSED_PAD src0_sel:BYTE_0 src1_sel:DWORD
	v_fmac_f32_e32 v72, v78, v98
	v_mul_f32_e32 v78, v150, v59
	v_lshlrev_b32_e32 v15, 3, v15
	v_fma_f32 v69, v113, v100, -v54
	v_fmac_f32_e32 v78, v38, v58
	global_load_dwordx4 v[98:101], v15, s[8:9] offset:32
	global_load_dwordx4 v[180:183], v15, s[8:9] offset:16
	global_load_dwordx4 v[58:61], v15, s[8:9]
	v_mul_f32_e32 v65, v152, v75
	v_fmac_f32_e32 v65, v40, v74
	v_mul_u32_u24_e32 v7, 0xc4, v7
	s_waitcnt vmcnt(2)
	v_mul_f32_e32 v62, v144, v101
	v_fmac_f32_e32 v62, v32, v100
	s_waitcnt vmcnt(0)
	v_mul_f32_e32 v15, v79, v59
	v_fma_f32 v38, v155, v58, -v15
	v_mul_f32_e32 v15, v36, v61
	v_mul_f32_e32 v40, v155, v59
	v_fma_f32 v54, v148, v60, -v15
	v_mul_f32_e32 v56, v148, v61
	v_mul_f32_e32 v15, v41, v181
	v_fmac_f32_e32 v40, v79, v58
	v_fmac_f32_e32 v56, v36, v60
	v_fma_f32 v36, v153, v180, -v15
	v_mul_f32_e32 v58, v153, v181
	v_mul_f32_e32 v15, v34, v183
	v_fmac_f32_e32 v58, v41, v180
	v_fma_f32 v41, v146, v182, -v15
	v_mul_f32_e32 v15, v39, v99
	v_fma_f32 v60, v151, v98, -v15
	v_mul_f32_e32 v61, v151, v99
	v_mul_f32_e32 v15, v32, v101
	v_fmac_f32_e32 v61, v39, v98
	v_fma_f32 v39, v144, v100, -v15
	v_mul_lo_u16_sdwa v15, v119, v90 dst_sel:DWORD dst_unused:UNUSED_PAD src0_sel:BYTE_0 src1_sel:DWORD
	v_sub_u16_sdwa v32, v119, v15 dst_sel:DWORD dst_unused:UNUSED_PAD src0_sel:DWORD src1_sel:BYTE_1
	v_lshrrev_b16_e32 v32, 1, v32
	v_and_b32_e32 v32, 0x7f, v32
	v_add_u16_sdwa v15, v32, v15 dst_sel:DWORD dst_unused:UNUSED_PAD src0_sel:DWORD src1_sel:BYTE_1
	v_lshrrev_b16_e32 v15, 2, v15
	v_mul_lo_u16_e32 v32, 7, v15
	v_mul_f32_e32 v59, v146, v183
	v_sub_u16_e32 v32, v119, v32
	v_fmac_f32_e32 v59, v34, v182
	v_mul_u32_u24_sdwa v34, v32, v93 dst_sel:DWORD dst_unused:UNUSED_PAD src0_sel:BYTE_0 src1_sel:DWORD
	v_lshlrev_b32_e32 v34, 3, v34
	global_load_dwordx4 v[98:101], v34, s[8:9] offset:32
	global_load_dwordx4 v[150:153], v34, s[8:9] offset:16
	global_load_dwordx4 v[180:183], v34, s[8:9]
	s_waitcnt vmcnt(2)
	v_mul_f32_e32 v82, v138, v99
	s_waitcnt vmcnt(1)
	v_mul_f32_e32 v76, v140, v151
	;; [unrolled: 2-line block ×3, first 2 shown]
	v_fma_f32 v73, v142, v180, -v34
	v_mul_f32_e32 v34, v28, v151
	v_fmac_f32_e32 v76, v28, v150
	v_mul_f32_e32 v28, v35, v153
	v_fma_f32 v79, v147, v152, -v28
	s_waitcnt lgkmcnt(13)
	v_mul_f32_e32 v28, v26, v99
	v_fmac_f32_e32 v82, v26, v98
	v_mul_f32_e32 v26, v33, v101
	v_mul_f32_e32 v81, v147, v153
	v_fma_f32 v86, v145, v100, -v26
	v_mul_lo_u16_sdwa v26, v163, v90 dst_sel:DWORD dst_unused:UNUSED_PAD src0_sel:BYTE_0 src1_sel:DWORD
	v_fmac_f32_e32 v81, v35, v152
	v_fma_f32 v35, v138, v98, -v28
	v_sub_u16_sdwa v28, v163, v26 dst_sel:DWORD dst_unused:UNUSED_PAD src0_sel:DWORD src1_sel:BYTE_1
	v_lshrrev_b16_e32 v28, 1, v28
	v_and_b32_e32 v28, 0x7f, v28
	v_add_u16_sdwa v26, v28, v26 dst_sel:DWORD dst_unused:UNUSED_PAD src0_sel:DWORD src1_sel:BYTE_1
	v_lshrrev_b16_e32 v26, 2, v26
	v_mul_lo_u16_e32 v28, 7, v26
	v_mul_f32_e32 v88, v145, v101
	v_sub_u16_e32 v28, v163, v28
	v_mul_f32_e32 v74, v142, v181
	v_fmac_f32_e32 v88, v33, v100
	v_mul_u32_u24_sdwa v33, v28, v93 dst_sel:DWORD dst_unused:UNUSED_PAD src0_sel:BYTE_0 src1_sel:DWORD
	v_fmac_f32_e32 v74, v30, v180
	v_mul_f32_e32 v30, v37, v183
	v_mul_f32_e32 v75, v149, v183
	v_lshlrev_b32_e32 v33, 3, v33
	v_fma_f32 v30, v149, v182, -v30
	v_fmac_f32_e32 v75, v37, v182
	v_fma_f32 v37, v140, v150, -v34
	global_load_dwordx4 v[98:101], v33, s[8:9] offset:32
	global_load_dwordx4 v[144:147], v33, s[8:9] offset:16
	global_load_dwordx4 v[148:151], v33, s[8:9]
	v_sub_f32_e32 v34, v66, v63
	s_waitcnt vmcnt(0)
	v_mul_f32_e32 v89, v143, v149
	v_mul_f32_e32 v33, v31, v149
	v_fmac_f32_e32 v89, v31, v148
	s_waitcnt lgkmcnt(11)
	v_mul_f32_e32 v31, v24, v151
	v_fma_f32 v109, v136, v150, -v31
	v_mul_f32_e32 v116, v136, v151
	v_mul_f32_e32 v136, v141, v145
	v_fmac_f32_e32 v116, v24, v150
	v_mul_f32_e32 v24, v29, v145
	v_fmac_f32_e32 v136, v29, v144
	s_waitcnt lgkmcnt(10)
	v_mul_f32_e32 v29, v22, v147
	v_fma_f32 v138, v134, v146, -v29
	v_mul_f32_e32 v134, v134, v147
	v_fmac_f32_e32 v134, v22, v146
	v_mul_f32_e32 v22, v27, v99
	v_fma_f32 v140, v139, v98, -v22
	s_waitcnt lgkmcnt(9)
	v_mul_f32_e32 v22, v20, v101
	v_fma_f32 v24, v141, v144, -v24
	v_fma_f32 v141, v132, v100, -v22
	v_mul_f32_e32 v132, v132, v101
	v_fmac_f32_e32 v132, v20, v100
	v_mul_lo_u16_sdwa v20, v165, v90 dst_sel:DWORD dst_unused:UNUSED_PAD src0_sel:BYTE_0 src1_sel:DWORD
	v_sub_u16_sdwa v22, v165, v20 dst_sel:DWORD dst_unused:UNUSED_PAD src0_sel:DWORD src1_sel:BYTE_1
	v_lshrrev_b16_e32 v22, 1, v22
	v_and_b32_e32 v22, 0x7f, v22
	v_add_u16_sdwa v20, v22, v20 dst_sel:DWORD dst_unused:UNUSED_PAD src0_sel:DWORD src1_sel:BYTE_1
	v_lshrrev_b16_e32 v22, 2, v20
	v_mul_lo_u16_e32 v20, 7, v22
	v_mul_f32_e32 v139, v139, v99
	v_sub_u16_e32 v20, v165, v20
	v_fmac_f32_e32 v139, v27, v98
	v_mul_u32_u24_sdwa v27, v20, v93 dst_sel:DWORD dst_unused:UNUSED_PAD src0_sel:BYTE_0 src1_sel:DWORD
	v_lshlrev_b32_e32 v27, 3, v27
	v_fma_f32 v33, v143, v148, -v33
	global_load_dwordx4 v[98:101], v27, s[8:9] offset:32
	global_load_dwordx4 v[144:147], v27, s[8:9] offset:16
	global_load_dwordx4 v[148:151], v27, s[8:9]
	v_add_f32_e32 v29, v63, v66
	v_add_f32_e32 v31, v65, v68
	v_sub_f32_e32 v63, v68, v65
	s_waitcnt vmcnt(0) lgkmcnt(7)
	v_mul_f32_e32 v27, v18, v149
	v_fma_f32 v142, v130, v148, -v27
	v_mul_f32_e32 v130, v130, v149
	v_fmac_f32_e32 v130, v18, v148
	v_mul_f32_e32 v18, v25, v151
	v_fma_f32 v143, v137, v150, -v18
	v_mul_f32_e32 v137, v137, v151
	s_waitcnt lgkmcnt(6)
	v_mul_f32_e32 v18, v2, v145
	v_fmac_f32_e32 v137, v25, v150
	v_fma_f32 v25, v128, v144, -v18
	v_mul_f32_e32 v128, v128, v145
	v_fmac_f32_e32 v128, v2, v144
	v_mul_f32_e32 v2, v23, v147
	v_fma_f32 v144, v135, v146, -v2
	v_mul_f32_e32 v135, v135, v147
	s_waitcnt lgkmcnt(5)
	v_mul_f32_e32 v2, v0, v99
	v_fmac_f32_e32 v135, v23, v146
	v_fma_f32 v23, v126, v98, -v2
	v_mul_f32_e32 v126, v126, v99
	v_fmac_f32_e32 v126, v0, v98
	v_mul_f32_e32 v0, v21, v101
	v_fma_f32 v145, v133, v100, -v0
	v_mul_u32_u24_sdwa v0, v169, s11 dst_sel:DWORD dst_unused:UNUSED_PAD src0_sel:WORD_0 src1_sel:DWORD
	v_sub_u16_sdwa v2, v169, v0 dst_sel:DWORD dst_unused:UNUSED_PAD src0_sel:DWORD src1_sel:WORD_1
	v_lshrrev_b16_e32 v2, 1, v2
	v_add_u16_sdwa v0, v2, v0 dst_sel:DWORD dst_unused:UNUSED_PAD src0_sel:DWORD src1_sel:WORD_1
	v_lshrrev_b16_e32 v18, 2, v0
	v_mul_f32_e32 v133, v133, v101
	v_mul_lo_u16_e32 v0, 7, v18
	v_fmac_f32_e32 v133, v21, v100
	v_sub_u16_e32 v21, v169, v0
	v_mul_u32_u24_e32 v0, 6, v21
	v_lshlrev_b32_e32 v0, 3, v0
	global_load_dwordx4 v[98:101], v0, s[8:9] offset:32
	global_load_dwordx4 v[148:151], v0, s[8:9] offset:16
	global_load_dwordx4 v[152:155], v0, s[8:9]
	s_waitcnt vmcnt(0)
	v_mul_f32_e32 v0, v19, v153
	v_fma_f32 v146, v131, v152, -v0
	v_mul_f32_e32 v131, v131, v153
	s_waitcnt lgkmcnt(3)
	v_mul_f32_e32 v0, v16, v155
	v_fmac_f32_e32 v131, v19, v152
	v_fma_f32 v19, v124, v154, -v0
	v_mul_f32_e32 v147, v124, v155
	v_mul_f32_e32 v0, v3, v149
	v_fmac_f32_e32 v147, v16, v154
	v_fma_f32 v16, v129, v148, -v0
	v_mul_f32_e32 v129, v129, v149
	s_waitcnt lgkmcnt(2)
	v_mul_f32_e32 v0, v12, v151
	v_fmac_f32_e32 v129, v3, v148
	v_fma_f32 v148, v110, v150, -v0
	v_mul_f32_e32 v149, v110, v151
	v_mul_f32_e32 v0, v1, v99
	v_fmac_f32_e32 v149, v12, v150
	v_fma_f32 v150, v127, v98, -v0
	s_waitcnt lgkmcnt(1)
	v_mul_f32_e32 v0, v8, v101
	v_mul_f32_e32 v127, v127, v99
	v_fma_f32 v151, v104, v100, -v0
	v_mul_u32_u24_sdwa v0, v173, s11 dst_sel:DWORD dst_unused:UNUSED_PAD src0_sel:WORD_0 src1_sel:DWORD
	v_fmac_f32_e32 v127, v1, v98
	v_sub_u16_sdwa v1, v173, v0 dst_sel:DWORD dst_unused:UNUSED_PAD src0_sel:DWORD src1_sel:WORD_1
	v_lshrrev_b16_e32 v1, 1, v1
	v_mul_f32_e32 v152, v104, v101
	v_add_u16_sdwa v0, v1, v0 dst_sel:DWORD dst_unused:UNUSED_PAD src0_sel:DWORD src1_sel:WORD_1
	v_fmac_f32_e32 v152, v8, v100
	v_lshrrev_b16_e32 v8, 2, v0
	v_mul_lo_u16_e32 v0, 7, v8
	v_sub_u16_e32 v12, v173, v0
	v_mul_u32_u24_e32 v0, 6, v12
	v_lshlrev_b32_e32 v27, 3, v0
	global_load_dwordx4 v[0:3], v27, s[8:9] offset:32
	global_load_dwordx4 v[98:101], v27, s[8:9] offset:16
	global_load_dwordx4 v[180:183], v27, s[8:9]
	s_waitcnt lgkmcnt(0)
	; wave barrier
	s_waitcnt lgkmcnt(0)
	s_movk_i32 s11, 0x4f
	s_waitcnt vmcnt(2)
	v_mul_f32_e32 v184, v94, v1
	v_fmac_f32_e32 v184, v6, v0
	s_waitcnt vmcnt(0)
	v_mul_f32_e32 v27, v14, v181
	v_mul_f32_e32 v154, v112, v181
	v_fma_f32 v153, v112, v180, -v27
	v_fmac_f32_e32 v154, v14, v180
	v_mul_f32_e32 v155, v125, v183
	v_mul_f32_e32 v180, v108, v99
	;; [unrolled: 1-line block ×3, first 2 shown]
	v_fmac_f32_e32 v155, v17, v182
	v_mul_f32_e32 v17, v10, v99
	v_fmac_f32_e32 v180, v10, v98
	v_mul_f32_e32 v10, v13, v101
	v_fma_f32 v181, v111, v100, -v10
	v_mul_f32_e32 v10, v6, v1
	v_fma_f32 v14, v125, v182, -v14
	;; [unrolled: 2-line block ×3, first 2 shown]
	v_mul_f32_e32 v0, v9, v3
	v_mul_f32_e32 v3, v105, v3
	v_add_f32_e32 v1, v71, v83
	v_add_f32_e32 v10, v69, v77
	v_fmac_f32_e32 v182, v13, v100
	v_fma_f32 v0, v105, v2, -v0
	v_fmac_f32_e32 v3, v9, v2
	v_add_f32_e32 v2, v72, v85
	v_add_f32_e32 v13, v70, v78
	;; [unrolled: 1-line block ×3, first 2 shown]
	v_fma_f32 v179, v108, v98, -v17
	v_sub_f32_e32 v6, v71, v83
	v_sub_f32_e32 v17, v69, v77
	v_add_f32_e32 v66, v13, v2
	v_sub_f32_e32 v68, v10, v1
	v_sub_f32_e32 v1, v1, v29
	;; [unrolled: 1-line block ×3, first 2 shown]
	v_add_f32_e32 v29, v29, v65
	v_sub_f32_e32 v9, v72, v85
	v_sub_f32_e32 v27, v70, v78
	;; [unrolled: 1-line block ×5, first 2 shown]
	v_add_f32_e32 v70, v34, v17
	v_sub_f32_e32 v72, v34, v17
	v_sub_f32_e32 v83, v6, v34
	v_add_f32_e32 v31, v31, v66
	v_add_f32_e32 v34, v67, v29
	v_sub_f32_e32 v77, v63, v27
	v_sub_f32_e32 v17, v17, v6
	v_add_f32_e32 v78, v53, v31
	v_mul_f32_e32 v66, 0xbf08b237, v72
	v_mov_b32_e32 v72, v34
	v_add_f32_e32 v71, v63, v27
	v_sub_f32_e32 v63, v9, v63
	v_sub_f32_e32 v27, v27, v9
	v_add_f32_e32 v6, v70, v6
	v_mul_f32_e32 v1, 0x3f4a47b2, v1
	v_mul_f32_e32 v2, 0x3f4a47b2, v2
	;; [unrolled: 1-line block ×6, first 2 shown]
	v_fmac_f32_e32 v72, 0xbf955555, v29
	v_mov_b32_e32 v29, v78
	v_add_f32_e32 v9, v71, v9
	v_mul_f32_e32 v71, 0x3f5ff5aa, v27
	v_fmac_f32_e32 v29, 0xbf955555, v31
	v_fma_f32 v31, v68, s14, -v53
	v_fma_f32 v53, v69, s14, -v65
	;; [unrolled: 1-line block ×3, first 2 shown]
	v_fmac_f32_e32 v1, 0x3d64c772, v10
	v_fma_f32 v10, v69, s5, -v2
	v_fmac_f32_e32 v2, 0x3d64c772, v13
	v_fma_f32 v13, v17, s4, -v66
	v_fma_f32 v17, v27, s4, -v67
	v_fmac_f32_e32 v67, 0x3eae86e6, v63
	v_fma_f32 v27, v83, s1, -v70
	v_fmac_f32_e32 v66, 0x3eae86e6, v83
	v_add_f32_e32 v1, v1, v72
	v_add_f32_e32 v31, v31, v72
	;; [unrolled: 1-line block ×3, first 2 shown]
	v_fmac_f32_e32 v67, 0x3ee1c552, v9
	v_fmac_f32_e32 v17, 0x3ee1c552, v9
	v_fmac_f32_e32 v27, 0x3ee1c552, v6
	v_fma_f32 v63, v63, s1, -v71
	v_add_f32_e32 v2, v2, v29
	v_add_f32_e32 v53, v53, v29
	v_fmac_f32_e32 v66, 0x3ee1c552, v6
	v_fmac_f32_e32 v13, 0x3ee1c552, v6
	v_add_f32_e32 v125, v67, v1
	v_sub_f32_e32 v99, v10, v27
	v_sub_f32_e32 v122, v31, v17
	v_add_f32_e32 v117, v17, v31
	v_add_f32_e32 v101, v27, v10
	v_sub_f32_e32 v31, v1, v67
	v_add_f32_e32 v1, v38, v39
	v_add_f32_e32 v10, v54, v60
	v_fmac_f32_e32 v63, 0x3ee1c552, v9
	v_sub_f32_e32 v104, v2, v66
	v_add_f32_e32 v102, v13, v53
	v_sub_f32_e32 v98, v53, v13
	v_add_f32_e32 v100, v66, v2
	v_add_f32_e32 v2, v40, v62
	v_sub_f32_e32 v9, v40, v62
	v_add_f32_e32 v13, v56, v61
	v_add_f32_e32 v29, v36, v41
	;; [unrolled: 1-line block ×3, first 2 shown]
	v_sub_f32_e32 v6, v38, v39
	v_sub_f32_e32 v17, v54, v60
	;; [unrolled: 1-line block ×3, first 2 shown]
	v_add_f32_e32 v38, v58, v59
	v_sub_f32_e32 v36, v41, v36
	v_sub_f32_e32 v39, v59, v58
	v_add_f32_e32 v41, v13, v2
	v_sub_f32_e32 v53, v10, v1
	v_sub_f32_e32 v1, v1, v29
	v_sub_f32_e32 v10, v29, v10
	v_add_f32_e32 v29, v29, v40
	v_sub_f32_e32 v54, v13, v2
	;; [unrolled: 4-line block ×3, first 2 shown]
	v_add_f32_e32 v38, v38, v41
	v_add_f32_e32 v59, v64, v29
	;; [unrolled: 1-line block ×3, first 2 shown]
	v_sub_f32_e32 v60, v36, v17
	v_sub_f32_e32 v36, v6, v36
	;; [unrolled: 1-line block ×3, first 2 shown]
	v_add_f32_e32 v6, v56, v6
	v_add_f32_e32 v90, v48, v38
	v_mul_f32_e32 v56, 0xbf08b237, v61
	v_mov_b32_e32 v61, v59
	v_sub_f32_e32 v39, v9, v39
	v_sub_f32_e32 v27, v27, v9
	v_add_f32_e32 v9, v58, v9
	v_mul_f32_e32 v1, 0x3f4a47b2, v1
	v_mul_f32_e32 v2, 0x3f4a47b2, v2
	;; [unrolled: 1-line block ×6, first 2 shown]
	v_fmac_f32_e32 v61, 0xbf955555, v29
	v_mov_b32_e32 v29, v90
	v_mul_f32_e32 v60, 0x3f5ff5aa, v27
	v_fmac_f32_e32 v29, 0xbf955555, v38
	v_fma_f32 v38, v53, s14, -v40
	v_fma_f32 v40, v54, s14, -v41
	;; [unrolled: 1-line block ×3, first 2 shown]
	v_fmac_f32_e32 v1, 0x3d64c772, v10
	v_fma_f32 v10, v54, s5, -v2
	v_fmac_f32_e32 v2, 0x3d64c772, v13
	v_fma_f32 v13, v17, s4, -v48
	v_fma_f32 v17, v27, s4, -v56
	v_fmac_f32_e32 v56, 0x3eae86e6, v39
	v_fma_f32 v27, v36, s1, -v58
	v_fmac_f32_e32 v48, 0x3eae86e6, v36
	v_fma_f32 v36, v39, s1, -v60
	v_add_f32_e32 v1, v1, v61
	v_add_f32_e32 v38, v38, v61
	v_add_f32_e32 v10, v10, v29
	v_fmac_f32_e32 v56, 0x3ee1c552, v9
	v_fmac_f32_e32 v17, 0x3ee1c552, v9
	;; [unrolled: 1-line block ×3, first 2 shown]
	v_add_f32_e32 v2, v2, v29
	v_add_f32_e32 v39, v40, v29
	;; [unrolled: 1-line block ×3, first 2 shown]
	v_fmac_f32_e32 v48, 0x3ee1c552, v6
	v_fmac_f32_e32 v13, 0x3ee1c552, v6
	;; [unrolled: 1-line block ×3, first 2 shown]
	v_add_f32_e32 v124, v56, v1
	v_sub_f32_e32 v94, v10, v27
	v_sub_f32_e32 v114, v38, v17
	v_add_f32_e32 v111, v17, v38
	v_add_f32_e32 v95, v27, v10
	v_sub_f32_e32 v17, v1, v56
	v_add_f32_e32 v1, v73, v86
	v_add_f32_e32 v10, v30, v35
	;; [unrolled: 3-line block ×3, first 2 shown]
	v_sub_f32_e32 v93, v39, v13
	v_sub_f32_e32 v113, v40, v36
	v_add_f32_e32 v53, v48, v2
	v_add_f32_e32 v2, v74, v88
	;; [unrolled: 1-line block ×3, first 2 shown]
	v_sub_f32_e32 v27, v30, v35
	v_add_f32_e32 v30, v37, v79
	v_sub_f32_e32 v36, v79, v37
	v_add_f32_e32 v38, v10, v1
	v_sub_f32_e32 v6, v73, v86
	v_sub_f32_e32 v29, v75, v82
	v_add_f32_e32 v35, v76, v81
	v_sub_f32_e32 v37, v81, v76
	v_add_f32_e32 v39, v13, v2
	v_sub_f32_e32 v40, v10, v1
	v_sub_f32_e32 v1, v1, v30
	;; [unrolled: 1-line block ×3, first 2 shown]
	v_add_f32_e32 v48, v36, v27
	v_add_f32_e32 v30, v30, v38
	v_sub_f32_e32 v9, v74, v88
	v_sub_f32_e32 v41, v13, v2
	;; [unrolled: 1-line block ×4, first 2 shown]
	v_add_f32_e32 v54, v37, v29
	v_sub_f32_e32 v56, v36, v27
	v_sub_f32_e32 v36, v6, v36
	;; [unrolled: 1-line block ×3, first 2 shown]
	v_add_f32_e32 v35, v35, v39
	v_add_f32_e32 v6, v48, v6
	;; [unrolled: 1-line block ×3, first 2 shown]
	v_sub_f32_e32 v58, v37, v29
	v_sub_f32_e32 v37, v9, v37
	v_sub_f32_e32 v29, v29, v9
	v_add_f32_e32 v9, v54, v9
	v_add_f32_e32 v54, v52, v35
	v_mov_b32_e32 v60, v48
	v_mul_f32_e32 v1, 0x3f4a47b2, v1
	v_mul_f32_e32 v2, 0x3f4a47b2, v2
	;; [unrolled: 1-line block ×7, first 2 shown]
	v_fmac_f32_e32 v60, 0xbf955555, v30
	v_mov_b32_e32 v30, v54
	v_mul_f32_e32 v58, 0x3f5ff5aa, v29
	v_fmac_f32_e32 v30, 0xbf955555, v35
	v_fma_f32 v35, v40, s14, -v38
	v_fma_f32 v38, v41, s14, -v39
	;; [unrolled: 1-line block ×3, first 2 shown]
	v_fmac_f32_e32 v1, 0x3d64c772, v10
	v_fma_f32 v10, v41, s5, -v2
	v_fmac_f32_e32 v2, 0x3d64c772, v13
	v_fma_f32 v13, v27, s4, -v52
	v_fma_f32 v27, v29, s4, -v56
	v_fmac_f32_e32 v56, 0x3eae86e6, v37
	v_fma_f32 v29, v36, s1, -v57
	v_fmac_f32_e32 v52, 0x3eae86e6, v36
	v_fma_f32 v36, v37, s1, -v58
	v_add_f32_e32 v1, v1, v60
	v_add_f32_e32 v35, v35, v60
	;; [unrolled: 1-line block ×4, first 2 shown]
	v_fmac_f32_e32 v56, 0x3ee1c552, v9
	v_fmac_f32_e32 v13, 0x3ee1c552, v6
	;; [unrolled: 1-line block ×4, first 2 shown]
	v_add_f32_e32 v2, v2, v30
	v_add_f32_e32 v38, v39, v60
	v_fmac_f32_e32 v52, 0x3ee1c552, v6
	v_fmac_f32_e32 v36, 0x3ee1c552, v9
	v_add_f32_e32 v123, v56, v1
	v_sub_f32_e32 v67, v10, v29
	v_sub_f32_e32 v110, v35, v27
	v_add_f32_e32 v68, v13, v37
	v_add_f32_e32 v105, v27, v35
	v_sub_f32_e32 v27, v37, v13
	v_add_f32_e32 v29, v29, v10
	v_sub_f32_e32 v10, v1, v56
	v_add_f32_e32 v1, v33, v141
	v_add_f32_e32 v13, v109, v140
	v_sub_f32_e32 v69, v2, v52
	v_add_f32_e32 v106, v36, v38
	v_sub_f32_e32 v108, v38, v36
	v_add_f32_e32 v36, v52, v2
	v_add_f32_e32 v2, v89, v132
	;; [unrolled: 1-line block ×5, first 2 shown]
	v_sub_f32_e32 v6, v33, v141
	v_sub_f32_e32 v33, v109, v140
	;; [unrolled: 1-line block ×3, first 2 shown]
	v_add_f32_e32 v38, v136, v134
	v_sub_f32_e32 v24, v138, v24
	v_sub_f32_e32 v39, v134, v136
	v_add_f32_e32 v41, v30, v2
	v_add_f32_e32 v40, v37, v40
	v_sub_f32_e32 v56, v30, v2
	v_sub_f32_e32 v2, v2, v38
	;; [unrolled: 1-line block ×3, first 2 shown]
	v_add_f32_e32 v57, v24, v33
	v_sub_f32_e32 v60, v24, v33
	v_sub_f32_e32 v61, v39, v35
	v_sub_f32_e32 v62, v6, v24
	v_add_f32_e32 v38, v38, v41
	v_add_f32_e32 v24, v55, v40
	v_sub_f32_e32 v9, v89, v132
	v_sub_f32_e32 v52, v13, v1
	;; [unrolled: 1-line block ×5, first 2 shown]
	v_add_f32_e32 v6, v57, v6
	v_add_f32_e32 v37, v50, v38
	v_mul_f32_e32 v57, 0xbf08b237, v61
	v_mov_b32_e32 v61, v24
	v_add_f32_e32 v58, v39, v35
	v_sub_f32_e32 v39, v9, v39
	v_sub_f32_e32 v35, v35, v9
	v_mul_f32_e32 v1, 0x3f4a47b2, v1
	v_mul_f32_e32 v2, 0x3f4a47b2, v2
	;; [unrolled: 1-line block ×5, first 2 shown]
	v_fmac_f32_e32 v61, 0xbf955555, v40
	v_mov_b32_e32 v40, v37
	v_add_f32_e32 v9, v58, v9
	v_mul_f32_e32 v58, 0x3f5ff5aa, v33
	v_mul_f32_e32 v60, 0x3f5ff5aa, v35
	v_fmac_f32_e32 v40, 0xbf955555, v38
	v_fma_f32 v38, v52, s14, -v41
	v_fma_f32 v41, v56, s14, -v50
	;; [unrolled: 1-line block ×3, first 2 shown]
	v_fmac_f32_e32 v1, 0x3d64c772, v13
	v_fma_f32 v13, v56, s5, -v2
	v_fmac_f32_e32 v2, 0x3d64c772, v30
	v_fma_f32 v30, v33, s4, -v55
	v_fma_f32 v33, v35, s4, -v57
	v_fmac_f32_e32 v57, 0x3eae86e6, v39
	v_fmac_f32_e32 v55, 0x3eae86e6, v62
	v_fma_f32 v35, v62, s1, -v58
	v_fma_f32 v52, v39, s1, -v60
	v_add_f32_e32 v1, v1, v61
	v_add_f32_e32 v41, v41, v40
	v_fmac_f32_e32 v57, 0x3ee1c552, v9
	v_fmac_f32_e32 v30, 0x3ee1c552, v6
	v_add_f32_e32 v2, v2, v40
	v_add_f32_e32 v56, v38, v61
	;; [unrolled: 1-line block ×4, first 2 shown]
	v_fmac_f32_e32 v55, 0x3ee1c552, v6
	v_fmac_f32_e32 v33, 0x3ee1c552, v9
	;; [unrolled: 1-line block ×4, first 2 shown]
	v_add_f32_e32 v116, v57, v1
	v_add_f32_e32 v40, v30, v41
	v_sub_f32_e32 v41, v41, v30
	v_sub_f32_e32 v6, v1, v57
	v_add_f32_e32 v1, v142, v145
	v_add_f32_e32 v30, v143, v23
	;; [unrolled: 1-line block ×3, first 2 shown]
	v_sub_f32_e32 v38, v2, v55
	v_add_f32_e32 v61, v52, v50
	v_sub_f32_e32 v39, v13, v35
	v_sub_f32_e32 v82, v56, v33
	v_add_f32_e32 v60, v33, v56
	v_sub_f32_e32 v81, v50, v52
	v_add_f32_e32 v50, v35, v13
	v_add_f32_e32 v52, v55, v2
	;; [unrolled: 1-line block ×4, first 2 shown]
	v_sub_f32_e32 v35, v137, v126
	v_add_f32_e32 v55, v25, v144
	v_sub_f32_e32 v57, v135, v128
	v_add_f32_e32 v58, v30, v1
	v_add_f32_e32 v118, v63, v65
	v_sub_f32_e32 v120, v65, v63
	v_sub_f32_e32 v13, v130, v133
	v_add_f32_e32 v56, v128, v135
	v_add_f32_e32 v62, v33, v2
	v_sub_f32_e32 v63, v30, v1
	v_sub_f32_e32 v1, v1, v55
	;; [unrolled: 1-line block ×3, first 2 shown]
	v_add_f32_e32 v66, v57, v35
	v_add_f32_e32 v55, v55, v58
	v_sub_f32_e32 v9, v142, v145
	v_sub_f32_e32 v23, v143, v23
	;; [unrolled: 1-line block ×9, first 2 shown]
	v_add_f32_e32 v56, v56, v62
	v_add_f32_e32 v58, v66, v13
	;; [unrolled: 1-line block ×4, first 2 shown]
	v_sub_f32_e32 v70, v25, v23
	v_sub_f32_e32 v23, v23, v9
	v_add_f32_e32 v51, v47, v56
	v_mov_b32_e32 v72, v13
	v_sub_f32_e32 v25, v9, v25
	v_add_f32_e32 v9, v65, v9
	v_mul_f32_e32 v1, 0x3f4a47b2, v1
	v_mul_f32_e32 v2, 0x3f4a47b2, v2
	;; [unrolled: 1-line block ×8, first 2 shown]
	v_fmac_f32_e32 v72, 0xbf955555, v55
	v_mov_b32_e32 v55, v51
	v_fmac_f32_e32 v55, 0xbf955555, v56
	v_fma_f32 v47, v63, s14, -v47
	v_fma_f32 v56, v64, s14, -v62
	;; [unrolled: 1-line block ×3, first 2 shown]
	v_fmac_f32_e32 v1, 0x3d64c772, v30
	v_fma_f32 v30, v64, s5, -v2
	v_fmac_f32_e32 v2, 0x3d64c772, v33
	v_fma_f32 v23, v23, s4, -v66
	;; [unrolled: 2-line block ×4, first 2 shown]
	v_fma_f32 v35, v57, s1, -v71
	v_add_f32_e32 v1, v1, v72
	v_add_f32_e32 v71, v2, v55
	;; [unrolled: 1-line block ×6, first 2 shown]
	v_fmac_f32_e32 v70, 0x3ee1c552, v58
	v_fmac_f32_e32 v23, 0x3ee1c552, v9
	;; [unrolled: 1-line block ×6, first 2 shown]
	v_add_f32_e32 v109, v70, v1
	v_add_f32_e32 v56, v35, v65
	v_sub_f32_e32 v62, v30, v25
	v_sub_f32_e32 v58, v2, v33
	v_add_f32_e32 v63, v23, v57
	v_add_f32_e32 v47, v33, v2
	v_sub_f32_e32 v64, v57, v23
	v_sub_f32_e32 v57, v65, v35
	v_add_f32_e32 v65, v25, v30
	v_sub_f32_e32 v2, v1, v70
	v_add_f32_e32 v1, v146, v151
	v_add_f32_e32 v30, v19, v150
	v_sub_f32_e32 v55, v71, v66
	v_add_f32_e32 v66, v66, v71
	v_add_f32_e32 v9, v131, v152
	;; [unrolled: 1-line block ×3, first 2 shown]
	v_sub_f32_e32 v19, v19, v150
	v_add_f32_e32 v70, v16, v148
	v_add_f32_e32 v71, v129, v149
	v_sub_f32_e32 v16, v148, v16
	v_add_f32_e32 v73, v30, v1
	v_sub_f32_e32 v23, v146, v151
	v_add_f32_e32 v74, v33, v9
	v_sub_f32_e32 v76, v33, v9
	v_sub_f32_e32 v77, v9, v71
	v_add_f32_e32 v9, v16, v19
	v_add_f32_e32 v73, v70, v73
	v_sub_f32_e32 v25, v131, v152
	v_sub_f32_e32 v35, v147, v127
	;; [unrolled: 1-line block ×7, first 2 shown]
	v_add_f32_e32 v71, v71, v74
	v_add_f32_e32 v23, v9, v23
	;; [unrolled: 1-line block ×3, first 2 shown]
	v_sub_f32_e32 v75, v30, v1
	v_sub_f32_e32 v1, v1, v70
	;; [unrolled: 1-line block ×3, first 2 shown]
	v_add_f32_e32 v79, v72, v35
	v_sub_f32_e32 v85, v72, v35
	v_sub_f32_e32 v35, v35, v25
	v_add_f32_e32 v70, v46, v71
	v_mov_b32_e32 v86, v9
	v_sub_f32_e32 v72, v25, v72
	v_add_f32_e32 v25, v79, v25
	v_mul_f32_e32 v1, 0x3f4a47b2, v1
	v_mul_f32_e32 v46, 0x3f4a47b2, v77
	;; [unrolled: 1-line block ×8, first 2 shown]
	v_fmac_f32_e32 v86, 0xbf955555, v73
	v_mov_b32_e32 v73, v70
	v_fmac_f32_e32 v73, 0xbf955555, v71
	v_fma_f32 v49, v75, s14, -v49
	v_fma_f32 v71, v76, s14, -v74
	v_fma_f32 v74, v75, s5, -v1
	v_fmac_f32_e32 v1, 0x3d64c772, v30
	v_fma_f32 v30, v76, s5, -v46
	v_fmac_f32_e32 v46, 0x3d64c772, v33
	v_fma_f32 v19, v19, s4, -v77
	;; [unrolled: 2-line block ×3, first 2 shown]
	v_fma_f32 v16, v16, s1, -v83
	v_fma_f32 v75, v72, s1, -v85
	v_fmac_f32_e32 v79, 0x3eae86e6, v72
	v_add_f32_e32 v1, v1, v86
	v_add_f32_e32 v49, v49, v86
	;; [unrolled: 1-line block ×4, first 2 shown]
	v_fmac_f32_e32 v33, 0x3ee1c552, v25
	v_fmac_f32_e32 v16, 0x3ee1c552, v23
	;; [unrolled: 1-line block ×3, first 2 shown]
	v_add_f32_e32 v76, v46, v73
	v_add_f32_e32 v83, v71, v73
	v_fmac_f32_e32 v77, 0x3ee1c552, v23
	v_fmac_f32_e32 v79, 0x3ee1c552, v25
	;; [unrolled: 1-line block ×3, first 2 shown]
	v_add_f32_e32 v30, v75, v85
	v_sub_f32_e32 v72, v86, v16
	v_sub_f32_e32 v35, v49, v33
	v_add_f32_e32 v25, v33, v49
	v_sub_f32_e32 v33, v85, v75
	v_add_f32_e32 v75, v16, v86
	v_add_f32_e32 v16, v153, v0
	;; [unrolled: 1-line block ×4, first 2 shown]
	v_sub_f32_e32 v71, v76, v77
	v_add_f32_e32 v73, v19, v83
	v_sub_f32_e32 v74, v83, v19
	v_sub_f32_e32 v1, v1, v79
	v_add_f32_e32 v76, v77, v76
	v_add_f32_e32 v19, v154, v3
	;; [unrolled: 1-line block ×3, first 2 shown]
	v_sub_f32_e32 v77, v155, v184
	v_add_f32_e32 v79, v179, v181
	v_sub_f32_e32 v86, v182, v180
	v_add_f32_e32 v88, v23, v16
	v_sub_f32_e32 v3, v154, v3
	v_sub_f32_e32 v14, v14, v183
	v_add_f32_e32 v83, v180, v182
	v_sub_f32_e32 v85, v181, v179
	v_add_f32_e32 v89, v49, v19
	v_sub_f32_e32 v126, v23, v16
	v_sub_f32_e32 v16, v16, v79
	;; [unrolled: 1-line block ×3, first 2 shown]
	v_add_f32_e32 v129, v86, v77
	v_add_f32_e32 v79, v79, v88
	v_sub_f32_e32 v0, v153, v0
	v_sub_f32_e32 v127, v49, v19
	;; [unrolled: 1-line block ×4, first 2 shown]
	v_add_f32_e32 v128, v85, v14
	v_sub_f32_e32 v131, v86, v77
	v_sub_f32_e32 v86, v3, v86
	;; [unrolled: 1-line block ×3, first 2 shown]
	v_add_f32_e32 v83, v83, v89
	v_add_f32_e32 v88, v129, v3
	;; [unrolled: 1-line block ×3, first 2 shown]
	v_sub_f32_e32 v130, v85, v14
	v_sub_f32_e32 v85, v0, v85
	v_sub_f32_e32 v14, v14, v0
	v_add_f32_e32 v0, v128, v0
	v_add_f32_e32 v77, v44, v83
	v_mul_f32_e32 v128, 0xbf08b237, v131
	v_mov_b32_e32 v131, v3
	v_mul_f32_e32 v16, 0x3f4a47b2, v16
	v_mul_f32_e32 v19, 0x3f4a47b2, v19
	;; [unrolled: 1-line block ×4, first 2 shown]
	v_fmac_f32_e32 v131, 0xbf955555, v79
	v_mov_b32_e32 v79, v77
	v_mul_f32_e32 v44, 0x3d64c772, v23
	v_fmac_f32_e32 v79, 0xbf955555, v83
	v_fma_f32 v45, v127, s14, -v45
	v_fma_f32 v83, v126, s5, -v16
	v_fmac_f32_e32 v16, 0x3d64c772, v23
	v_fma_f32 v23, v127, s5, -v19
	v_fmac_f32_e32 v19, 0x3d64c772, v49
	v_fma_f32 v49, v14, s4, -v89
	v_mul_f32_e32 v129, 0x3f5ff5aa, v14
	v_mul_f32_e32 v130, 0x3f5ff5aa, v132
	v_add_f32_e32 v45, v45, v79
	v_fmac_f32_e32 v49, 0x3ee1c552, v0
	v_fma_f32 v44, v126, s14, -v44
	v_fmac_f32_e32 v89, 0x3eae86e6, v85
	v_fma_f32 v14, v132, s4, -v128
	;; [unrolled: 2-line block ×3, first 2 shown]
	v_fma_f32 v127, v86, s1, -v130
	v_add_f32_e32 v85, v49, v45
	v_sub_f32_e32 v86, v45, v49
	v_mov_b32_e32 v45, 2
	v_add_f32_e32 v132, v23, v79
	v_fmac_f32_e32 v126, 0x3ee1c552, v0
	v_lshlrev_b32_sdwa v43, v45, v43 dst_sel:DWORD dst_unused:UNUSED_PAD src0_sel:DWORD src1_sel:BYTE_0
	v_lshlrev_b32_sdwa v11, v45, v11 dst_sel:DWORD dst_unused:UNUSED_PAD src0_sel:DWORD src1_sel:BYTE_0
	v_add_f32_e32 v129, v16, v131
	v_add_f32_e32 v130, v19, v79
	;; [unrolled: 1-line block ×4, first 2 shown]
	v_fmac_f32_e32 v128, 0x3ee1c552, v88
	v_fmac_f32_e32 v14, 0x3ee1c552, v88
	;; [unrolled: 1-line block ×3, first 2 shown]
	v_sub_f32_e32 v83, v132, v126
	v_add_f32_e32 v88, v126, v132
	v_add3_u32 v126, 0, v42, v43
	v_add3_u32 v43, 0, v7, v11
	v_mul_u32_u24_e32 v7, 0xc4, v15
	v_lshlrev_b32_sdwa v11, v45, v32 dst_sel:DWORD dst_unused:UNUSED_PAD src0_sel:DWORD src1_sel:BYTE_0
	v_add3_u32 v42, 0, v7, v11
	ds_write2_b32 v126, v34, v125 offset1:7
	ds_write2_b32 v126, v118, v122 offset0:14 offset1:21
	ds_write2_b32 v126, v117, v120 offset0:28 offset1:35
	ds_write_b32 v126, v31 offset:168
	ds_write2_b32 v43, v59, v124 offset1:7
	ds_write2_b32 v43, v112, v114 offset0:14 offset1:21
	ds_write2_b32 v43, v111, v113 offset0:28 offset1:35
	ds_write_b32 v43, v17 offset:168
	;; [unrolled: 4-line block ×3, first 2 shown]
	v_mul_u32_u24_e32 v7, 0xc4, v26
	v_lshlrev_b32_sdwa v10, v45, v28 dst_sel:DWORD dst_unused:UNUSED_PAD src0_sel:DWORD src1_sel:BYTE_0
	v_add3_u32 v26, 0, v7, v10
	ds_write2_b32 v26, v24, v116 offset1:7
	ds_write2_b32 v26, v61, v82 offset0:14 offset1:21
	ds_write2_b32 v26, v60, v81 offset0:28 offset1:35
	ds_write_b32 v26, v6 offset:168
	v_mul_u32_u24_e32 v6, 0xc4, v22
	v_lshlrev_b32_sdwa v7, v45, v20 dst_sel:DWORD dst_unused:UNUSED_PAD src0_sel:DWORD src1_sel:BYTE_0
	v_add3_u32 v28, 0, v6, v7
	ds_write2_b32 v28, v13, v109 offset1:7
	ds_write2_b32 v28, v56, v58 offset0:14 offset1:21
	ds_write2_b32 v28, v47, v57 offset0:28 offset1:35
	ds_write_b32 v28, v2 offset:168
	v_mul_u32_u24_e32 v2, 0xc4, v18
	v_lshlrev_b32_e32 v6, 2, v21
	v_add3_u32 v110, 0, v2, v6
	ds_write2_b32 v110, v9, v46 offset1:7
	ds_write2_b32 v110, v30, v35 offset0:14 offset1:21
	ds_write2_b32 v110, v25, v33 offset0:28 offset1:35
	ds_write_b32 v110, v1 offset:168
	v_mul_u32_u24_e32 v1, 0xc4, v8
	v_lshlrev_b32_e32 v2, 2, v12
	v_fmac_f32_e32 v89, 0x3ee1c552, v0
	v_add_f32_e32 v44, v128, v129
	v_add_f32_e32 v16, v127, v131
	v_sub_f32_e32 v23, v19, v14
	v_add_f32_e32 v14, v14, v19
	v_sub_f32_e32 v19, v131, v127
	v_sub_f32_e32 v0, v129, v128
	v_add3_u32 v111, 0, v1, v2
	v_sub_f32_e32 v79, v130, v89
	v_add_f32_e32 v89, v89, v130
	ds_write2_b32 v111, v3, v44 offset1:7
	ds_write2_b32 v111, v16, v23 offset0:14 offset1:21
	ds_write2_b32 v111, v14, v19 offset0:28 offset1:35
	ds_write_b32 v111, v0 offset:168
	s_waitcnt lgkmcnt(0)
	; wave barrier
	s_waitcnt lgkmcnt(0)
	ds_read_b32 v109, v115
	ds_read2_b32 v[60:61], v168 offset0:87 offset1:136
	ds_read2_b32 v[14:15], v170 offset0:125 offset1:174
	;; [unrolled: 1-line block ×6, first 2 shown]
	ds_read_b32 v108, v84
	ds_read2_b32 v[48:49], v175 offset0:95 offset1:144
	ds_read2_b32 v[46:47], v172 offset0:141 offset1:190
	ds_read2_b32 v[44:45], v160 offset0:59 offset1:108
	ds_read_b32 v112, v80
	ds_read2_b32 v[34:35], v168 offset0:185 offset1:234
	ds_read2_b32 v[32:33], v166 offset0:103 offset1:152
	ds_read2_b32 v[30:31], v167 offset0:21 offset1:70
	;; [unrolled: 4-line block ×5, first 2 shown]
	ds_read_b32 v81, v87
	s_waitcnt lgkmcnt(0)
	; wave barrier
	s_waitcnt lgkmcnt(0)
	ds_write2_b32 v126, v78, v104 offset1:7
	ds_write2_b32 v126, v99, v102 offset0:14 offset1:21
	ds_write2_b32 v126, v98, v101 offset0:28 offset1:35
	ds_write_b32 v126, v100 offset:168
	ds_write2_b32 v43, v90, v103 offset1:7
	ds_write2_b32 v43, v94, v96 offset0:14 offset1:21
	ds_write2_b32 v43, v93, v95 offset0:28 offset1:35
	ds_write_b32 v43, v53 offset:168
	;; [unrolled: 4-line block ×7, first 2 shown]
	v_mul_u32_u24_e32 v86, 6, v159
	v_lshlrev_b32_e32 v86, 3, v86
	s_waitcnt lgkmcnt(0)
	; wave barrier
	s_waitcnt lgkmcnt(0)
	ds_read_b32 v90, v115
	ds_read2_b32 v[116:117], v168 offset0:87 offset1:136
	ds_read2_b32 v[40:41], v170 offset0:125 offset1:174
	;; [unrolled: 1-line block ×6, first 2 shown]
	ds_read_b32 v88, v84
	ds_read2_b32 v[78:79], v175 offset0:95 offset1:144
	ds_read2_b32 v[76:77], v172 offset0:141 offset1:190
	ds_read2_b32 v[74:75], v160 offset0:59 offset1:108
	ds_read_b32 v89, v80
	ds_read2_b32 v[72:73], v168 offset0:185 offset1:234
	ds_read2_b32 v[70:71], v166 offset0:103 offset1:152
	ds_read2_b32 v[68:69], v167 offset0:21 offset1:70
	ds_read_b32 v100, v178
	ds_read2_b32 v[66:67], v161 offset0:65 offset1:114
	ds_read2_b32 v[64:65], v162 offset0:111 offset1:160
	ds_read2_b32 v[62:63], v160 offset0:157 offset1:206
	ds_read_b32 v94, v177
	ds_read2_b32 v[54:55], v170 offset0:27 offset1:76
	ds_read2_b32 v[52:53], v166 offset0:201 offset1:250
	ds_read2_b32 v[50:51], v167 offset0:119 offset1:168
	ds_read_b32 v85, v107
	ds_read2_b32 v[42:43], v161 offset0:163 offset1:212
	ds_read2_b32 v[38:39], v176 offset0:81 offset1:130
	ds_read2_b32 v[28:29], v91 offset0:127 offset1:176
	ds_read_b32 v83, v87
	global_load_dwordx4 v[122:125], v86, s[8:9] offset:368
	global_load_dwordx4 v[126:129], v86, s[8:9] offset:352
	;; [unrolled: 1-line block ×3, first 2 shown]
	s_waitcnt vmcnt(2)
	v_mul_f32_e32 v113, v7, v125
	s_waitcnt vmcnt(1)
	v_mul_f32_e32 v99, v11, v129
	s_waitcnt vmcnt(0) lgkmcnt(14)
	v_mul_f32_e32 v93, v116, v131
	v_fma_f32 v103, v60, v130, -v93
	v_mul_f32_e32 v104, v60, v131
	v_mul_f32_e32 v60, v41, v133
	v_fma_f32 v101, v15, v132, -v60
	v_mul_f32_e32 v102, v15, v133
	;; [unrolled: 3-line block ×3, first 2 shown]
	v_fma_f32 v98, v11, v128, -v15
	v_mul_f32_e32 v11, v136, v123
	v_fmac_f32_e32 v99, v37, v128
	v_fma_f32 v37, v56, v122, -v11
	v_mul_f32_e32 v11, v27, v125
	v_fma_f32 v111, v7, v124, -v11
	v_mul_f32_e32 v7, v117, v131
	v_fmac_f32_e32 v113, v27, v124
	v_fma_f32 v27, v61, v130, -v7
	v_mul_f32_e32 v7, v78, v133
	v_mul_f32_e32 v110, v56, v123
	v_fma_f32 v56, v48, v132, -v7
	v_mul_f32_e32 v7, v135, v127
	v_mul_f32_e32 v96, v58, v127
	v_fma_f32 v58, v59, v126, -v7
	v_mul_f32_e32 v7, v76, v129
	v_fma_f32 v60, v46, v128, -v7
	v_mul_f32_e32 v7, v137, v123
	v_fmac_f32_e32 v102, v41, v132
	v_mul_f32_e32 v41, v61, v131
	v_mul_f32_e32 v46, v46, v129
	v_fma_f32 v61, v57, v122, -v7
	v_mul_f32_e32 v7, v74, v125
	v_fmac_f32_e32 v46, v76, v128
	v_fma_f32 v76, v44, v124, -v7
	v_mul_lo_u16_sdwa v7, v119, s11 dst_sel:DWORD dst_unused:UNUSED_PAD src0_sel:BYTE_0 src1_sel:DWORD
	v_sub_u16_sdwa v11, v119, v7 dst_sel:DWORD dst_unused:UNUSED_PAD src0_sel:DWORD src1_sel:BYTE_1
	v_lshrrev_b16_e32 v11, 1, v11
	v_and_b32_e32 v11, 0x7f, v11
	v_add_u16_sdwa v7, v11, v7 dst_sel:DWORD dst_unused:UNUSED_PAD src0_sel:DWORD src1_sel:BYTE_1
	v_lshrrev_b16_e32 v7, 5, v7
	v_mul_lo_u16_e32 v7, 49, v7
	v_sub_u16_e32 v7, v119, v7
	v_and_b32_e32 v7, 0xff, v7
	v_mul_u32_u24_e32 v11, 6, v7
	v_mul_f32_e32 v48, v48, v133
	v_mul_f32_e32 v59, v59, v127
	;; [unrolled: 1-line block ×4, first 2 shown]
	v_lshlrev_b32_e32 v11, 3, v11
	v_fmac_f32_e32 v104, v116, v130
	v_fmac_f32_e32 v96, v134, v126
	;; [unrolled: 1-line block ×8, first 2 shown]
	global_load_dwordx4 v[126:129], v11, s[8:9] offset:368
	global_load_dwordx4 v[122:125], v11, s[8:9] offset:352
	;; [unrolled: 1-line block ×3, first 2 shown]
	s_waitcnt vmcnt(0)
	v_mul_f32_e32 v11, v72, v131
	v_fma_f32 v93, v34, v130, -v11
	v_mul_f32_e32 v34, v34, v131
	v_mul_f32_e32 v11, v79, v133
	v_fmac_f32_e32 v34, v72, v130
	v_fma_f32 v72, v49, v132, -v11
	v_mul_f32_e32 v49, v49, v133
	v_mul_f32_e32 v11, v70, v123
	v_fmac_f32_e32 v49, v79, v132
	;; [unrolled: 4-line block ×3, first 2 shown]
	v_fma_f32 v70, v47, v124, -v11
	v_mul_f32_e32 v123, v47, v125
	s_waitcnt lgkmcnt(13)
	v_mul_f32_e32 v11, v68, v127
	v_fmac_f32_e32 v123, v77, v124
	v_fma_f32 v77, v30, v126, -v11
	v_mul_f32_e32 v124, v30, v127
	v_mul_f32_e32 v11, v75, v129
	v_fmac_f32_e32 v124, v68, v126
	v_fma_f32 v68, v45, v128, -v11
	v_mul_lo_u16_sdwa v11, v163, s11 dst_sel:DWORD dst_unused:UNUSED_PAD src0_sel:BYTE_0 src1_sel:DWORD
	v_sub_u16_sdwa v15, v163, v11 dst_sel:DWORD dst_unused:UNUSED_PAD src0_sel:DWORD src1_sel:BYTE_1
	v_lshrrev_b16_e32 v15, 1, v15
	v_and_b32_e32 v15, 0x7f, v15
	v_add_u16_sdwa v11, v15, v11 dst_sel:DWORD dst_unused:UNUSED_PAD src0_sel:DWORD src1_sel:BYTE_1
	v_lshrrev_b16_e32 v11, 5, v11
	v_mul_lo_u16_e32 v11, 49, v11
	v_sub_u16_e32 v11, v163, v11
	v_and_b32_e32 v11, 0xff, v11
	v_mul_u32_u24_e32 v15, 6, v11
	v_mul_f32_e32 v45, v45, v129
	v_lshlrev_b32_e32 v15, 3, v15
	v_fmac_f32_e32 v45, v75, v128
	global_load_dwordx4 v[128:131], v15, s[8:9] offset:368
	global_load_dwordx4 v[132:135], v15, s[8:9] offset:352
	;; [unrolled: 1-line block ×3, first 2 shown]
	s_waitcnt vmcnt(0)
	v_mul_f32_e32 v15, v73, v137
	v_fma_f32 v125, v35, v136, -v15
	s_waitcnt lgkmcnt(11)
	v_mul_f32_e32 v15, v66, v139
	v_fma_f32 v126, v24, v138, -v15
	v_mul_f32_e32 v24, v24, v139
	v_mul_f32_e32 v15, v71, v133
	v_fmac_f32_e32 v24, v66, v138
	v_fma_f32 v66, v33, v132, -v15
	s_waitcnt lgkmcnt(10)
	v_mul_f32_e32 v15, v64, v135
	v_fma_f32 v127, v22, v134, -v15
	v_mul_f32_e32 v22, v22, v135
	v_mul_f32_e32 v15, v69, v129
	v_fmac_f32_e32 v22, v64, v134
	v_fma_f32 v64, v31, v128, -v15
	v_mul_f32_e32 v31, v31, v129
	s_waitcnt lgkmcnt(9)
	v_mul_f32_e32 v15, v62, v131
	v_fmac_f32_e32 v31, v69, v128
	v_fma_f32 v69, v20, v130, -v15
	v_mul_lo_u16_sdwa v15, v165, s11 dst_sel:DWORD dst_unused:UNUSED_PAD src0_sel:BYTE_0 src1_sel:DWORD
	v_sub_u16_sdwa v30, v165, v15 dst_sel:DWORD dst_unused:UNUSED_PAD src0_sel:DWORD src1_sel:BYTE_1
	v_lshrrev_b16_e32 v30, 1, v30
	v_and_b32_e32 v30, 0x7f, v30
	v_add_u16_sdwa v15, v30, v15 dst_sel:DWORD dst_unused:UNUSED_PAD src0_sel:DWORD src1_sel:BYTE_1
	v_lshrrev_b16_e32 v15, 5, v15
	v_mul_lo_u16_e32 v15, 49, v15
	v_sub_u16_e32 v15, v165, v15
	v_and_b32_e32 v15, 0xff, v15
	v_mul_u32_u24_e32 v30, 6, v15
	v_mul_f32_e32 v35, v35, v137
	v_mul_f32_e32 v33, v33, v133
	;; [unrolled: 1-line block ×3, first 2 shown]
	v_lshlrev_b32_e32 v30, 3, v30
	v_fmac_f32_e32 v35, v73, v136
	v_fmac_f32_e32 v33, v71, v132
	;; [unrolled: 1-line block ×3, first 2 shown]
	global_load_dwordx4 v[134:137], v30, s[8:9] offset:368
	global_load_dwordx4 v[138:141], v30, s[8:9] offset:352
	;; [unrolled: 1-line block ×3, first 2 shown]
	s_movk_i32 s11, 0x4e5f
	v_lshl_add_u32 v15, v15, 2, 0
	s_waitcnt vmcnt(0) lgkmcnt(7)
	v_mul_f32_e32 v30, v54, v131
	v_fma_f32 v128, v18, v130, -v30
	v_mul_f32_e32 v129, v18, v131
	v_mul_f32_e32 v18, v67, v133
	v_fmac_f32_e32 v129, v54, v130
	v_fma_f32 v54, v25, v132, -v18
	s_waitcnt lgkmcnt(6)
	v_mul_f32_e32 v18, v52, v139
	v_fma_f32 v130, v2, v138, -v18
	v_mul_f32_e32 v131, v2, v139
	v_mul_f32_e32 v2, v65, v141
	;; [unrolled: 1-line block ×3, first 2 shown]
	v_fmac_f32_e32 v131, v52, v138
	v_fma_f32 v52, v23, v140, -v2
	s_waitcnt lgkmcnt(5)
	v_mul_f32_e32 v2, v50, v135
	v_fmac_f32_e32 v25, v67, v132
	v_fma_f32 v132, v0, v134, -v2
	v_mul_f32_e32 v133, v0, v135
	v_mul_f32_e32 v0, v63, v137
	v_fmac_f32_e32 v133, v50, v134
	v_fma_f32 v50, v21, v136, -v0
	v_mul_u32_u24_sdwa v0, v169, s11 dst_sel:DWORD dst_unused:UNUSED_PAD src0_sel:WORD_0 src1_sel:DWORD
	v_sub_u16_sdwa v2, v169, v0 dst_sel:DWORD dst_unused:UNUSED_PAD src0_sel:DWORD src1_sel:WORD_1
	v_lshrrev_b16_e32 v2, 1, v2
	v_add_u16_sdwa v0, v2, v0 dst_sel:DWORD dst_unused:UNUSED_PAD src0_sel:DWORD src1_sel:WORD_1
	v_lshrrev_b16_e32 v0, 5, v0
	v_mul_lo_u16_e32 v0, 49, v0
	v_sub_u16_e32 v18, v169, v0
	v_mul_u32_u24_e32 v0, 6, v18
	v_mul_f32_e32 v134, v21, v137
	v_lshlrev_b32_e32 v0, 3, v0
	v_fmac_f32_e32 v134, v63, v136
	global_load_dwordx4 v[142:145], v0, s[8:9] offset:368
	global_load_dwordx4 v[146:149], v0, s[8:9] offset:352
	;; [unrolled: 1-line block ×3, first 2 shown]
	v_mul_f32_e32 v23, v23, v141
	v_fmac_f32_e32 v23, v65, v140
	v_lshl_add_u32 v18, v18, 2, 0
	s_waitcnt vmcnt(2)
	v_mul_f32_e32 v140, v1, v143
	v_fmac_f32_e32 v140, v51, v142
	s_waitcnt vmcnt(0)
	v_mul_f32_e32 v0, v55, v137
	v_fma_f32 v135, v19, v136, -v0
	v_mul_f32_e32 v19, v19, v137
	s_waitcnt lgkmcnt(3)
	v_mul_f32_e32 v0, v42, v139
	v_fmac_f32_e32 v19, v55, v136
	v_fma_f32 v136, v16, v138, -v0
	v_mul_f32_e32 v137, v16, v139
	v_mul_f32_e32 v0, v53, v147
	v_fmac_f32_e32 v137, v42, v138
	v_fma_f32 v42, v3, v146, -v0
	v_mul_f32_e32 v138, v3, v147
	s_waitcnt lgkmcnt(2)
	v_mul_f32_e32 v0, v38, v149
	v_fmac_f32_e32 v138, v53, v146
	v_fma_f32 v53, v12, v148, -v0
	v_mul_f32_e32 v139, v12, v149
	v_mul_f32_e32 v0, v51, v143
	v_fmac_f32_e32 v139, v38, v148
	v_fma_f32 v38, v1, v142, -v0
	s_waitcnt lgkmcnt(1)
	v_mul_f32_e32 v0, v28, v145
	v_fma_f32 v141, v8, v144, -v0
	v_mul_u32_u24_sdwa v0, v173, s11 dst_sel:DWORD dst_unused:UNUSED_PAD src0_sel:WORD_0 src1_sel:DWORD
	v_sub_u16_sdwa v1, v173, v0 dst_sel:DWORD dst_unused:UNUSED_PAD src0_sel:DWORD src1_sel:WORD_1
	v_lshrrev_b16_e32 v1, 1, v1
	v_add_u16_sdwa v0, v1, v0 dst_sel:DWORD dst_unused:UNUSED_PAD src0_sel:DWORD src1_sel:WORD_1
	v_lshrrev_b16_e32 v0, 5, v0
	v_mul_lo_u16_e32 v0, 49, v0
	v_sub_u16_e32 v12, v173, v0
	v_mul_u32_u24_e32 v0, 6, v12
	v_mul_f32_e32 v142, v8, v145
	v_lshlrev_b32_e32 v8, 3, v0
	global_load_dwordx4 v[0:3], v8, s[8:9] offset:368
	global_load_dwordx4 v[148:151], v8, s[8:9] offset:352
	;; [unrolled: 1-line block ×3, first 2 shown]
	v_fmac_f32_e32 v142, v28, v144
	v_sub_f32_e32 v16, v98, v95
	s_waitcnt lgkmcnt(0)
	; wave barrier
	s_waitcnt vmcnt(1) lgkmcnt(0)
	v_mul_f32_e32 v147, v10, v149
	s_waitcnt vmcnt(0)
	v_mul_f32_e32 v8, v40, v153
	v_fma_f32 v143, v14, v152, -v8
	v_mul_f32_e32 v8, v43, v155
	v_fma_f32 v145, v17, v154, -v8
	v_mul_f32_e32 v146, v17, v155
	v_mul_f32_e32 v8, v36, v149
	v_fmac_f32_e32 v146, v43, v154
	v_fma_f32 v43, v10, v148, -v8
	v_fmac_f32_e32 v147, v36, v148
	v_mul_f32_e32 v8, v39, v151
	v_mul_f32_e32 v148, v13, v151
	v_fma_f32 v36, v13, v150, -v8
	v_fmac_f32_e32 v148, v39, v150
	v_mul_f32_e32 v8, v26, v1
	v_mul_f32_e32 v150, v6, v1
	v_fma_f32 v149, v6, v0, -v8
	v_fmac_f32_e32 v150, v26, v0
	v_mul_f32_e32 v0, v29, v3
	v_fma_f32 v151, v9, v2, -v0
	v_add_f32_e32 v0, v103, v111
	v_add_f32_e32 v6, v101, v37
	v_mul_f32_e32 v144, v14, v153
	v_add_f32_e32 v1, v104, v113
	v_add_f32_e32 v8, v102, v110
	v_sub_f32_e32 v10, v102, v110
	v_add_f32_e32 v13, v95, v98
	v_sub_f32_e32 v17, v99, v96
	v_add_f32_e32 v21, v6, v0
	v_fmac_f32_e32 v144, v40, v152
	v_mul_f32_e32 v152, v9, v3
	v_sub_f32_e32 v3, v104, v113
	v_sub_f32_e32 v9, v101, v37
	v_add_f32_e32 v14, v96, v99
	v_add_f32_e32 v26, v8, v1
	v_sub_f32_e32 v28, v6, v0
	v_sub_f32_e32 v0, v0, v13
	v_sub_f32_e32 v6, v13, v6
	v_add_f32_e32 v37, v17, v10
	v_add_f32_e32 v13, v13, v21
	v_fmac_f32_e32 v152, v29, v2
	v_sub_f32_e32 v2, v103, v111
	v_sub_f32_e32 v29, v8, v1
	v_sub_f32_e32 v1, v1, v14
	v_sub_f32_e32 v8, v14, v8
	v_add_f32_e32 v30, v16, v9
	v_sub_f32_e32 v40, v17, v10
	v_sub_f32_e32 v17, v3, v17
	;; [unrolled: 1-line block ×3, first 2 shown]
	v_add_f32_e32 v14, v14, v26
	v_add_f32_e32 v3, v37, v3
	;; [unrolled: 1-line block ×3, first 2 shown]
	v_sub_f32_e32 v39, v16, v9
	v_sub_f32_e32 v16, v2, v16
	;; [unrolled: 1-line block ×3, first 2 shown]
	v_add_f32_e32 v2, v30, v2
	v_add_f32_e32 v30, v90, v14
	v_mov_b32_e32 v55, v37
	v_mul_f32_e32 v0, 0x3f4a47b2, v0
	v_mul_f32_e32 v1, 0x3f4a47b2, v1
	;; [unrolled: 1-line block ×7, first 2 shown]
	v_fmac_f32_e32 v55, 0xbf955555, v13
	v_mov_b32_e32 v13, v30
	v_mul_f32_e32 v51, 0x3f5ff5aa, v10
	v_fmac_f32_e32 v13, 0xbf955555, v14
	v_fma_f32 v14, v28, s14, -v21
	v_fma_f32 v21, v29, s14, -v26
	v_fma_f32 v26, v28, s5, -v0
	v_fmac_f32_e32 v0, 0x3d64c772, v6
	v_fma_f32 v6, v29, s5, -v1
	v_fmac_f32_e32 v1, 0x3d64c772, v8
	v_fma_f32 v8, v9, s4, -v39
	v_fma_f32 v9, v10, s4, -v40
	v_fmac_f32_e32 v40, 0x3eae86e6, v17
	v_fma_f32 v10, v16, s1, -v47
	v_fmac_f32_e32 v39, 0x3eae86e6, v16
	v_fma_f32 v16, v17, s1, -v51
	v_add_f32_e32 v0, v0, v55
	v_add_f32_e32 v6, v6, v13
	v_fmac_f32_e32 v40, 0x3ee1c552, v3
	v_fmac_f32_e32 v10, 0x3ee1c552, v2
	v_add_f32_e32 v1, v1, v13
	v_add_f32_e32 v17, v21, v13
	;; [unrolled: 1-line block ×3, first 2 shown]
	v_fmac_f32_e32 v39, 0x3ee1c552, v2
	v_fmac_f32_e32 v8, 0x3ee1c552, v2
	;; [unrolled: 1-line block ×3, first 2 shown]
	v_add_f32_e32 v122, v40, v0
	v_sub_f32_e32 v96, v6, v10
	v_add_f32_e32 v102, v10, v6
	v_sub_f32_e32 v47, v0, v40
	v_add_f32_e32 v0, v27, v76
	v_add_f32_e32 v6, v56, v61
	;; [unrolled: 1-line block ×3, first 2 shown]
	v_fmac_f32_e32 v9, 0x3ee1c552, v3
	v_sub_f32_e32 v95, v1, v39
	v_add_f32_e32 v113, v16, v21
	v_add_f32_e32 v98, v8, v17
	v_sub_f32_e32 v99, v17, v8
	v_sub_f32_e32 v116, v21, v16
	v_add_f32_e32 v103, v39, v1
	v_add_f32_e32 v1, v41, v44
	;; [unrolled: 1-line block ×5, first 2 shown]
	v_sub_f32_e32 v117, v14, v9
	v_add_f32_e32 v101, v9, v14
	v_sub_f32_e32 v2, v27, v76
	v_add_f32_e32 v14, v59, v46
	v_add_f32_e32 v26, v8, v1
	v_sub_f32_e32 v27, v6, v0
	v_sub_f32_e32 v0, v0, v13
	;; [unrolled: 1-line block ×3, first 2 shown]
	v_add_f32_e32 v13, v13, v21
	v_sub_f32_e32 v9, v56, v61
	v_sub_f32_e32 v10, v48, v57
	;; [unrolled: 1-line block ×7, first 2 shown]
	v_add_f32_e32 v14, v14, v26
	v_add_f32_e32 v114, v108, v13
	v_sub_f32_e32 v3, v41, v44
	v_add_f32_e32 v29, v16, v9
	v_add_f32_e32 v39, v17, v10
	v_sub_f32_e32 v40, v16, v9
	v_sub_f32_e32 v41, v17, v10
	;; [unrolled: 1-line block ×3, first 2 shown]
	v_add_f32_e32 v104, v88, v14
	v_mov_b32_e32 v44, v114
	v_sub_f32_e32 v16, v2, v16
	v_sub_f32_e32 v17, v3, v17
	;; [unrolled: 1-line block ×3, first 2 shown]
	v_add_f32_e32 v2, v29, v2
	v_add_f32_e32 v3, v39, v3
	v_mul_f32_e32 v0, 0x3f4a47b2, v0
	v_mul_f32_e32 v1, 0x3f4a47b2, v1
	;; [unrolled: 1-line block ×7, first 2 shown]
	v_fmac_f32_e32 v44, 0xbf955555, v13
	v_mov_b32_e32 v13, v104
	v_mul_f32_e32 v41, 0x3f5ff5aa, v10
	v_fmac_f32_e32 v13, 0xbf955555, v14
	v_fma_f32 v14, v27, s14, -v21
	v_fma_f32 v21, v28, s14, -v26
	v_fma_f32 v26, v27, s5, -v0
	v_fmac_f32_e32 v0, 0x3d64c772, v6
	v_fma_f32 v6, v28, s5, -v1
	v_fmac_f32_e32 v1, 0x3d64c772, v8
	v_fma_f32 v8, v9, s4, -v29
	v_fma_f32 v9, v10, s4, -v39
	v_fmac_f32_e32 v39, 0x3eae86e6, v17
	v_fma_f32 v10, v16, s1, -v40
	v_fmac_f32_e32 v29, 0x3eae86e6, v16
	v_fma_f32 v16, v17, s1, -v41
	v_add_f32_e32 v0, v0, v44
	v_add_f32_e32 v6, v6, v13
	v_fmac_f32_e32 v39, 0x3ee1c552, v3
	v_fmac_f32_e32 v10, 0x3ee1c552, v2
	v_add_f32_e32 v1, v1, v13
	v_add_f32_e32 v17, v21, v13
	;; [unrolled: 1-line block ×3, first 2 shown]
	v_fmac_f32_e32 v29, 0x3ee1c552, v2
	v_fmac_f32_e32 v8, 0x3ee1c552, v2
	;; [unrolled: 1-line block ×3, first 2 shown]
	v_add_f32_e32 v118, v39, v0
	v_sub_f32_e32 v111, v6, v10
	v_add_f32_e32 v88, v10, v6
	v_sub_f32_e32 v76, v0, v39
	v_add_f32_e32 v0, v93, v68
	v_add_f32_e32 v6, v72, v77
	;; [unrolled: 1-line block ×3, first 2 shown]
	v_fmac_f32_e32 v9, 0x3ee1c552, v3
	v_sub_f32_e32 v110, v1, v29
	v_add_f32_e32 v120, v16, v21
	v_add_f32_e32 v108, v8, v17
	v_sub_f32_e32 v109, v17, v8
	v_sub_f32_e32 v74, v21, v16
	v_add_f32_e32 v90, v29, v1
	v_add_f32_e32 v1, v34, v45
	;; [unrolled: 1-line block ×5, first 2 shown]
	v_sub_f32_e32 v75, v14, v9
	v_add_f32_e32 v78, v9, v14
	v_add_f32_e32 v14, v32, v123
	;; [unrolled: 1-line block ×3, first 2 shown]
	v_sub_f32_e32 v27, v6, v0
	v_sub_f32_e32 v0, v0, v13
	;; [unrolled: 1-line block ×3, first 2 shown]
	v_add_f32_e32 v13, v13, v21
	v_sub_f32_e32 v2, v93, v68
	v_sub_f32_e32 v9, v72, v77
	;; [unrolled: 1-line block ×8, first 2 shown]
	v_add_f32_e32 v14, v14, v26
	v_add_f32_e32 v51, v112, v13
	v_sub_f32_e32 v3, v34, v45
	v_add_f32_e32 v29, v16, v9
	v_add_f32_e32 v32, v17, v10
	v_sub_f32_e32 v34, v16, v9
	v_sub_f32_e32 v39, v17, v10
	;; [unrolled: 1-line block ×3, first 2 shown]
	v_add_f32_e32 v55, v89, v14
	v_mov_b32_e32 v40, v51
	v_sub_f32_e32 v16, v2, v16
	v_sub_f32_e32 v17, v3, v17
	;; [unrolled: 1-line block ×3, first 2 shown]
	v_add_f32_e32 v2, v29, v2
	v_add_f32_e32 v3, v32, v3
	v_mul_f32_e32 v0, 0x3f4a47b2, v0
	v_mul_f32_e32 v1, 0x3f4a47b2, v1
	;; [unrolled: 1-line block ×7, first 2 shown]
	v_fmac_f32_e32 v40, 0xbf955555, v13
	v_mov_b32_e32 v13, v55
	v_mul_f32_e32 v39, 0x3f5ff5aa, v10
	v_fmac_f32_e32 v13, 0xbf955555, v14
	v_fma_f32 v14, v27, s14, -v21
	v_fma_f32 v21, v28, s14, -v26
	;; [unrolled: 1-line block ×3, first 2 shown]
	v_fmac_f32_e32 v0, 0x3d64c772, v6
	v_fma_f32 v6, v28, s5, -v1
	v_fmac_f32_e32 v1, 0x3d64c772, v8
	v_fma_f32 v8, v9, s4, -v29
	v_fma_f32 v9, v10, s4, -v32
	v_fmac_f32_e32 v32, 0x3eae86e6, v17
	v_fma_f32 v10, v16, s1, -v34
	v_fmac_f32_e32 v29, 0x3eae86e6, v16
	v_fma_f32 v16, v17, s1, -v39
	v_add_f32_e32 v0, v0, v40
	v_add_f32_e32 v6, v6, v13
	v_fmac_f32_e32 v32, 0x3ee1c552, v3
	v_fmac_f32_e32 v10, 0x3ee1c552, v2
	v_add_f32_e32 v1, v1, v13
	v_add_f32_e32 v17, v21, v13
	;; [unrolled: 1-line block ×3, first 2 shown]
	v_fmac_f32_e32 v29, 0x3ee1c552, v2
	v_fmac_f32_e32 v8, 0x3ee1c552, v2
	;; [unrolled: 1-line block ×3, first 2 shown]
	v_add_f32_e32 v112, v32, v0
	v_sub_f32_e32 v71, v6, v10
	v_add_f32_e32 v79, v10, v6
	v_sub_f32_e32 v73, v0, v32
	v_add_f32_e32 v0, v125, v69
	v_add_f32_e32 v6, v126, v64
	;; [unrolled: 1-line block ×3, first 2 shown]
	v_fmac_f32_e32 v9, 0x3ee1c552, v3
	v_sub_f32_e32 v93, v1, v29
	v_add_f32_e32 v68, v16, v21
	v_add_f32_e32 v89, v8, v17
	v_sub_f32_e32 v63, v17, v8
	v_sub_f32_e32 v70, v21, v16
	v_add_f32_e32 v16, v29, v1
	v_add_f32_e32 v1, v35, v20
	;; [unrolled: 1-line block ×5, first 2 shown]
	v_sub_f32_e32 v72, v14, v9
	v_add_f32_e32 v67, v9, v14
	v_sub_f32_e32 v3, v35, v20
	v_sub_f32_e32 v10, v24, v31
	v_add_f32_e32 v14, v33, v22
	v_sub_f32_e32 v20, v22, v33
	v_add_f32_e32 v22, v8, v1
	v_sub_f32_e32 v24, v6, v0
	v_sub_f32_e32 v0, v0, v13
	;; [unrolled: 1-line block ×3, first 2 shown]
	v_add_f32_e32 v13, v13, v21
	v_sub_f32_e32 v2, v125, v69
	v_sub_f32_e32 v9, v126, v64
	;; [unrolled: 1-line block ×6, first 2 shown]
	v_add_f32_e32 v14, v14, v22
	v_add_f32_e32 v44, v106, v13
	;; [unrolled: 1-line block ×4, first 2 shown]
	v_sub_f32_e32 v29, v17, v9
	v_sub_f32_e32 v31, v20, v10
	;; [unrolled: 1-line block ×4, first 2 shown]
	v_add_f32_e32 v17, v100, v14
	v_mov_b32_e32 v33, v44
	v_sub_f32_e32 v20, v3, v20
	v_sub_f32_e32 v10, v10, v3
	v_add_f32_e32 v2, v27, v2
	v_add_f32_e32 v3, v28, v3
	v_mul_f32_e32 v0, 0x3f4a47b2, v0
	v_mul_f32_e32 v1, 0x3f4a47b2, v1
	;; [unrolled: 1-line block ×7, first 2 shown]
	v_fmac_f32_e32 v33, 0xbf955555, v13
	v_mov_b32_e32 v13, v17
	v_mul_f32_e32 v31, 0x3f5ff5aa, v10
	v_fmac_f32_e32 v13, 0xbf955555, v14
	v_fma_f32 v14, v24, s14, -v21
	v_fma_f32 v21, v26, s14, -v22
	;; [unrolled: 1-line block ×3, first 2 shown]
	v_fmac_f32_e32 v0, 0x3d64c772, v6
	v_fma_f32 v6, v26, s5, -v1
	v_fmac_f32_e32 v1, 0x3d64c772, v8
	v_fma_f32 v8, v9, s4, -v27
	v_fma_f32 v9, v10, s4, -v28
	;; [unrolled: 1-line block ×3, first 2 shown]
	v_fmac_f32_e32 v28, 0x3eae86e6, v20
	v_fma_f32 v24, v20, s1, -v31
	v_add_f32_e32 v26, v0, v33
	v_add_f32_e32 v29, v1, v13
	;; [unrolled: 1-line block ×5, first 2 shown]
	v_fmac_f32_e32 v8, 0x3ee1c552, v2
	v_fmac_f32_e32 v9, 0x3ee1c552, v3
	v_fmac_f32_e32 v10, 0x3ee1c552, v2
	v_fmac_f32_e32 v27, 0x3eae86e6, v32
	v_add_f32_e32 v14, v22, v33
	v_fmac_f32_e32 v28, 0x3ee1c552, v3
	v_fmac_f32_e32 v24, 0x3ee1c552, v3
	v_sub_f32_e32 v20, v6, v10
	v_sub_f32_e32 v65, v0, v9
	v_add_f32_e32 v21, v8, v1
	v_add_f32_e32 v60, v9, v0
	v_sub_f32_e32 v0, v1, v8
	v_add_f32_e32 v1, v10, v6
	v_add_f32_e32 v3, v128, v50
	;; [unrolled: 1-line block ×3, first 2 shown]
	v_fmac_f32_e32 v27, 0x3ee1c552, v2
	v_add_f32_e32 v100, v28, v26
	v_add_f32_e32 v62, v24, v14
	v_sub_f32_e32 v64, v14, v24
	v_sub_f32_e32 v66, v26, v28
	v_add_f32_e32 v6, v129, v134
	v_add_f32_e32 v13, v25, v133
	v_sub_f32_e32 v24, v25, v133
	v_add_f32_e32 v25, v130, v52
	v_add_f32_e32 v28, v10, v3
	v_sub_f32_e32 v22, v29, v27
	v_add_f32_e32 v2, v27, v29
	v_sub_f32_e32 v14, v54, v132
	;; [unrolled: 2-line block ×4, first 2 shown]
	v_sub_f32_e32 v33, v3, v25
	v_sub_f32_e32 v10, v25, v10
	v_add_f32_e32 v25, v25, v28
	v_sub_f32_e32 v8, v128, v50
	v_sub_f32_e32 v9, v129, v134
	v_sub_f32_e32 v23, v23, v131
	v_sub_f32_e32 v32, v13, v6
	v_sub_f32_e32 v6, v6, v26
	v_sub_f32_e32 v13, v26, v13
	v_add_f32_e32 v3, v27, v14
	v_add_f32_e32 v26, v26, v29
	;; [unrolled: 1-line block ×4, first 2 shown]
	v_sub_f32_e32 v35, v27, v14
	v_sub_f32_e32 v39, v23, v24
	;; [unrolled: 1-line block ×5, first 2 shown]
	v_add_f32_e32 v8, v3, v8
	v_add_f32_e32 v3, v94, v26
	v_mov_b32_e32 v45, v40
	v_sub_f32_e32 v23, v9, v23
	v_add_f32_e32 v9, v34, v9
	v_mul_f32_e32 v28, 0x3f4a47b2, v33
	v_mul_f32_e32 v6, 0x3f4a47b2, v6
	;; [unrolled: 1-line block ×6, first 2 shown]
	v_fmac_f32_e32 v45, 0xbf955555, v25
	v_mov_b32_e32 v25, v3
	v_mul_f32_e32 v33, 0x3d64c772, v13
	v_mul_f32_e32 v39, 0x3f5ff5aa, v14
	v_fmac_f32_e32 v25, 0xbf955555, v26
	v_fma_f32 v26, v31, s14, -v29
	v_fma_f32 v31, v31, s5, -v28
	v_fmac_f32_e32 v28, 0x3d64c772, v10
	v_fma_f32 v10, v32, s5, -v6
	v_fmac_f32_e32 v6, 0x3d64c772, v13
	v_fma_f32 v13, v14, s4, -v34
	v_fma_f32 v14, v24, s4, -v35
	v_fmac_f32_e32 v35, 0x3eae86e6, v23
	v_fma_f32 v23, v23, s1, -v41
	v_fma_f32 v29, v32, s14, -v33
	v_fmac_f32_e32 v34, 0x3eae86e6, v27
	v_fma_f32 v24, v27, s1, -v39
	v_add_f32_e32 v26, v26, v45
	v_add_f32_e32 v31, v31, v45
	v_fmac_f32_e32 v14, 0x3ee1c552, v9
	v_fmac_f32_e32 v23, 0x3ee1c552, v9
	v_add_f32_e32 v27, v28, v45
	v_add_f32_e32 v28, v6, v25
	v_add_f32_e32 v29, v29, v25
	v_add_f32_e32 v25, v10, v25
	v_fmac_f32_e32 v34, 0x3ee1c552, v8
	v_fmac_f32_e32 v35, 0x3ee1c552, v9
	;; [unrolled: 1-line block ×4, first 2 shown]
	v_add_f32_e32 v56, v23, v31
	v_sub_f32_e32 v59, v26, v14
	v_add_f32_e32 v54, v14, v26
	v_sub_f32_e32 v57, v31, v23
	v_add_f32_e32 v23, v135, v141
	v_add_f32_e32 v26, v136, v38
	;; [unrolled: 1-line block ×3, first 2 shown]
	v_sub_f32_e32 v6, v28, v34
	v_sub_f32_e32 v8, v25, v24
	v_add_f32_e32 v9, v13, v29
	v_sub_f32_e32 v10, v29, v13
	v_add_f32_e32 v13, v24, v25
	;; [unrolled: 2-line block ×3, first 2 shown]
	v_add_f32_e32 v24, v19, v142
	v_add_f32_e32 v27, v137, v140
	v_sub_f32_e32 v28, v136, v38
	v_add_f32_e32 v31, v42, v53
	v_sub_f32_e32 v33, v53, v42
	;; [unrolled: 2-line block ×3, first 2 shown]
	v_sub_f32_e32 v29, v137, v140
	v_add_f32_e32 v32, v138, v139
	v_sub_f32_e32 v34, v139, v138
	v_add_f32_e32 v38, v27, v24
	v_sub_f32_e32 v41, v26, v23
	v_sub_f32_e32 v23, v23, v31
	;; [unrolled: 1-line block ×3, first 2 shown]
	v_add_f32_e32 v39, v33, v28
	v_add_f32_e32 v31, v31, v35
	v_sub_f32_e32 v19, v19, v142
	v_sub_f32_e32 v42, v27, v24
	;; [unrolled: 1-line block ×4, first 2 shown]
	v_add_f32_e32 v45, v34, v29
	v_sub_f32_e32 v46, v33, v28
	v_sub_f32_e32 v33, v25, v33
	;; [unrolled: 1-line block ×3, first 2 shown]
	v_add_f32_e32 v32, v32, v38
	v_add_f32_e32 v25, v39, v25
	;; [unrolled: 1-line block ×3, first 2 shown]
	v_sub_f32_e32 v48, v34, v29
	v_sub_f32_e32 v34, v19, v34
	;; [unrolled: 1-line block ×3, first 2 shown]
	v_add_f32_e32 v35, v45, v19
	v_add_f32_e32 v19, v85, v32
	v_mov_b32_e32 v50, v39
	v_mul_f32_e32 v23, 0x3f4a47b2, v23
	v_mul_f32_e32 v24, 0x3f4a47b2, v24
	;; [unrolled: 1-line block ×7, first 2 shown]
	v_fmac_f32_e32 v50, 0xbf955555, v31
	v_mov_b32_e32 v31, v19
	v_mul_f32_e32 v49, 0x3f5ff5aa, v29
	v_fmac_f32_e32 v31, 0xbf955555, v32
	v_fma_f32 v32, v41, s14, -v38
	v_fma_f32 v38, v42, s14, -v45
	;; [unrolled: 1-line block ×3, first 2 shown]
	v_fmac_f32_e32 v23, 0x3d64c772, v26
	v_fma_f32 v26, v42, s5, -v24
	v_fmac_f32_e32 v24, 0x3d64c772, v27
	v_fma_f32 v27, v28, s4, -v46
	v_fma_f32 v28, v29, s4, -v53
	v_fmac_f32_e32 v53, 0x3eae86e6, v34
	v_fma_f32 v29, v33, s1, -v48
	v_fmac_f32_e32 v46, 0x3eae86e6, v33
	v_fma_f32 v33, v34, s1, -v49
	v_add_f32_e32 v34, v23, v50
	v_add_f32_e32 v42, v24, v31
	;; [unrolled: 1-line block ×4, first 2 shown]
	v_fmac_f32_e32 v53, 0x3ee1c552, v35
	v_fmac_f32_e32 v27, 0x3ee1c552, v25
	;; [unrolled: 1-line block ×3, first 2 shown]
	v_add_f32_e32 v32, v32, v50
	v_fmac_f32_e32 v46, 0x3ee1c552, v25
	v_fmac_f32_e32 v28, 0x3ee1c552, v35
	v_add_f32_e32 v69, v53, v34
	v_sub_f32_e32 v24, v31, v29
	v_add_f32_e32 v25, v27, v38
	v_sub_f32_e32 v26, v38, v27
	;; [unrolled: 2-line block ×3, first 2 shown]
	v_add_f32_e32 v29, v143, v151
	v_add_f32_e32 v34, v145, v149
	;; [unrolled: 1-line block ×3, first 2 shown]
	v_fmac_f32_e32 v33, 0x3ee1c552, v35
	v_sub_f32_e32 v23, v42, v46
	v_sub_f32_e32 v52, v32, v28
	v_add_f32_e32 v48, v28, v32
	v_add_f32_e32 v28, v46, v42
	;; [unrolled: 1-line block ×7, first 2 shown]
	v_sub_f32_e32 v50, v41, v33
	v_sub_f32_e32 v32, v143, v151
	;; [unrolled: 1-line block ×4, first 2 shown]
	v_add_f32_e32 v45, v147, v148
	v_sub_f32_e32 v36, v36, v43
	v_sub_f32_e32 v43, v148, v147
	v_add_f32_e32 v61, v35, v31
	v_sub_f32_e32 v82, v34, v29
	v_sub_f32_e32 v94, v29, v42
	v_sub_f32_e32 v34, v42, v34
	v_add_f32_e32 v42, v42, v46
	v_sub_f32_e32 v85, v35, v31
	;; [unrolled: 4-line block ×3, first 2 shown]
	v_sub_f32_e32 v123, v43, v41
	v_sub_f32_e32 v124, v38, v32
	v_add_f32_e32 v45, v45, v61
	v_add_f32_e32 v38, v81, v42
	v_sub_f32_e32 v33, v144, v152
	v_sub_f32_e32 v36, v32, v36
	v_add_f32_e32 v32, v29, v32
	v_add_f32_e32 v29, v83, v45
	v_mul_f32_e32 v46, 0x3f4a47b2, v94
	v_mul_f32_e32 v94, 0xbf08b237, v123
	v_mov_b32_e32 v123, v38
	v_add_f32_e32 v105, v43, v41
	v_sub_f32_e32 v41, v41, v33
	v_mul_f32_e32 v31, 0x3f4a47b2, v31
	v_mul_f32_e32 v61, 0x3d64c772, v34
	;; [unrolled: 1-line block ×4, first 2 shown]
	v_fmac_f32_e32 v123, 0xbf955555, v42
	v_mov_b32_e32 v42, v29
	v_sub_f32_e32 v43, v33, v43
	v_add_f32_e32 v33, v105, v33
	v_mul_f32_e32 v105, 0x3f5ff5aa, v124
	v_mul_f32_e32 v106, 0x3f5ff5aa, v41
	v_fmac_f32_e32 v42, 0xbf955555, v45
	v_fma_f32 v45, v82, s14, -v61
	v_fma_f32 v61, v85, s14, -v81
	v_fma_f32 v81, v82, s5, -v46
	v_fmac_f32_e32 v46, 0x3d64c772, v34
	v_fma_f32 v34, v85, s5, -v31
	v_fmac_f32_e32 v31, 0x3d64c772, v35
	v_fma_f32 v35, v124, s4, -v83
	;; [unrolled: 2-line block ×4, first 2 shown]
	v_fma_f32 v43, v43, s1, -v106
	v_add_f32_e32 v105, v61, v42
	v_fmac_f32_e32 v35, 0x3ee1c552, v32
	v_add_f32_e32 v106, v34, v42
	v_fmac_f32_e32 v94, 0x3ee1c552, v33
	v_fmac_f32_e32 v41, 0x3ee1c552, v33
	;; [unrolled: 1-line block ×3, first 2 shown]
	v_add_f32_e32 v33, v35, v105
	v_sub_f32_e32 v34, v105, v35
	v_lshl_add_u32 v105, v7, 2, 0
	v_add_f32_e32 v82, v46, v123
	v_add_f32_e32 v45, v45, v123
	;; [unrolled: 1-line block ×3, first 2 shown]
	v_fmac_f32_e32 v36, 0x3ee1c552, v32
	ds_write2_b32 v115, v37, v122 offset1:49
	ds_write2_b32 v115, v113, v117 offset0:98 offset1:147
	ds_write2_b32 v115, v101, v116 offset0:196 offset1:245
	;; [unrolled: 1-line block ×4, first 2 shown]
	v_add_u32_e32 v122, 0x600, v115
	v_add_u32_e32 v120, 0x800, v105
	v_lshl_add_u32 v7, v11, 2, 0
	v_lshl_add_u32 v116, v12, 2, 0
	v_add_f32_e32 v85, v31, v42
	v_fmac_f32_e32 v83, 0x3ee1c552, v32
	v_add_f32_e32 v61, v94, v82
	v_add_f32_e32 v42, v43, v81
	v_sub_f32_e32 v32, v106, v36
	v_sub_f32_e32 v46, v45, v41
	v_add_f32_e32 v41, v41, v45
	v_sub_f32_e32 v45, v81, v43
	v_add_f32_e32 v35, v36, v106
	v_sub_f32_e32 v36, v82, v94
	ds_write2_b32 v122, v75, v78 offset0:106 offset1:155
	ds_write2_b32 v170, v74, v76 offset0:76 offset1:125
	;; [unrolled: 1-line block ×3, first 2 shown]
	v_add_u32_e32 v118, 0xc00, v105
	v_add_u32_e32 v11, 0x1000, v7
	;; [unrolled: 1-line block ×7, first 2 shown]
	v_sub_f32_e32 v31, v85, v83
	v_add_f32_e32 v43, v83, v85
	ds_write2_b32 v118, v68, v72 offset0:16 offset1:65
	ds_write2_b32 v118, v67, v70 offset0:114 offset1:163
	ds_write_b32 v105, v73 offset:3920
	ds_write2_b32 v11, v44, v100 offset0:5 offset1:54
	ds_write2_b32 v11, v62, v65 offset0:103 offset1:152
	ds_write2_b32 v11, v60, v64 offset0:201 offset1:250
	ds_write_b32 v7, v66 offset:5292
	ds_write2_b32 v106, v40, v77 offset0:92 offset1:141
	;; [unrolled: 4-line block ×4, first 2 shown]
	ds_write2_b32 v117, v42, v46 offset0:108 offset1:157
	ds_write2_b32 v117, v41, v45 offset0:206 offset1:255
	ds_write_b32 v116, v36 offset:9408
	s_waitcnt lgkmcnt(0)
	; wave barrier
	s_waitcnt lgkmcnt(0)
	ds_read_b32 v12, v115
	ds_read2_b32 v[44:45], v168 offset0:87 offset1:136
	ds_read2_b32 v[48:49], v170 offset0:125 offset1:174
	;; [unrolled: 1-line block ×6, first 2 shown]
	ds_read_b32 v42, v84
	ds_read2_b32 v[40:41], v175 offset0:95 offset1:144
	ds_read2_b32 v[36:37], v172 offset0:141 offset1:190
	ds_read2_b32 v[38:39], v160 offset0:59 offset1:108
	ds_read_b32 v94, v80
	ds_read2_b32 v[80:81], v168 offset0:185 offset1:234
	ds_read2_b32 v[82:83], v166 offset0:103 offset1:152
	ds_read2_b32 v[84:85], v167 offset0:21 offset1:70
	ds_read_b32 v78, v178
	ds_read2_b32 v[76:77], v161 offset0:65 offset1:114
	ds_read2_b32 v[72:73], v162 offset0:111 offset1:160
	ds_read2_b32 v[74:75], v160 offset0:157 offset1:206
	ds_read_b32 v70, v177
	ds_read2_b32 v[64:65], v170 offset0:27 offset1:76
	ds_read2_b32 v[66:67], v166 offset0:201 offset1:250
	ds_read2_b32 v[68:69], v167 offset0:119 offset1:168
	ds_read_b32 v62, v107
	ds_read2_b32 v[60:61], v161 offset0:163 offset1:212
	ds_read2_b32 v[56:57], v176 offset0:81 offset1:130
	ds_read2_b32 v[58:59], v91 offset0:127 offset1:176
	ds_read_b32 v54, v87
	s_waitcnt lgkmcnt(0)
	; wave barrier
	s_waitcnt lgkmcnt(0)
	ds_write2_b32 v115, v30, v95 offset1:49
	ds_write2_b32 v115, v96, v98 offset0:98 offset1:147
	ds_write2_b32 v115, v99, v102 offset0:196 offset1:245
	;; [unrolled: 1-line block ×9, first 2 shown]
	ds_write_b32 v105, v16 offset:3920
	ds_write2_b32 v11, v17, v22 offset0:5 offset1:54
	ds_write2_b32 v11, v20, v21 offset0:103 offset1:152
	ds_write2_b32 v11, v0, v1 offset0:201 offset1:250
	ds_write_b32 v7, v2 offset:5292
	ds_write2_b32 v106, v3, v6 offset0:92 offset1:141
	ds_write2_b32 v106, v8, v9 offset0:190 offset1:239
	ds_write2_b32 v112, v10, v13 offset0:32 offset1:81
	;; [unrolled: 4-line block ×4, first 2 shown]
	ds_write_b32 v116, v43 offset:9408
	s_waitcnt lgkmcnt(0)
	; wave barrier
	s_waitcnt lgkmcnt(0)
	s_and_saveexec_b64 s[18:19], vcc
	s_cbranch_execz .LBB0_15
; %bb.14:
	v_mov_b32_e32 v43, s9
	v_add_co_u32_e32 v0, vcc, s8, v86
	v_addc_co_u32_e32 v1, vcc, 0, v43, vcc
	global_load_dwordx4 v[14:17], v[0:1], off offset:2688
	global_load_dwordx4 v[18:21], v[0:1], off offset:2720
	ds_read2_b32 v[86:87], v170 offset0:125 offset1:174
	ds_read2_b32 v[90:91], v91 offset0:127 offset1:176
	;; [unrolled: 1-line block ×7, first 2 shown]
	ds_read_b32 v13, v115
	global_load_dwordx4 v[22:25], v[0:1], off offset:2704
	v_mul_i32_i24_e32 v26, 6, v173
	v_mov_b32_e32 v27, 0
	v_mov_b32_e32 v7, s13
	v_add_co_u32_e32 v132, vcc, s12, v4
	v_lshlrev_b64 v[2:3], 3, v[26:27]
	v_addc_co_u32_e32 v133, vcc, v7, v5, vcc
	v_mul_i32_i24_e32 v26, 6, v169
	v_add_co_u32_e32 v30, vcc, s8, v2
	v_mad_u64_u32 v[28:29], s[18:19], s2, v159, 0
	v_addc_co_u32_e32 v31, vcc, v43, v3, vcc
	v_lshlrev_b64 v[32:33], 3, v[26:27]
	v_mov_b32_e32 v6, v29
	v_mul_i32_i24_e32 v26, 6, v165
	v_add_co_u32_e32 v114, vcc, s8, v32
	v_mad_u64_u32 v[34:35], s[12:13], s3, v159, v[6:7]
	global_load_dwordx4 v[0:3], v[30:31], off offset:2688
	global_load_dwordx4 v[4:7], v[30:31], off offset:2704
	;; [unrolled: 1-line block ×3, first 2 shown]
	v_addc_co_u32_e32 v115, vcc, v43, v33, vcc
	v_lshlrev_b64 v[30:31], 3, v[26:27]
	v_mul_i32_i24_e32 v26, 6, v163
	v_add_co_u32_e32 v110, vcc, s8, v30
	v_addc_co_u32_e32 v111, vcc, v43, v31, vcc
	v_lshlrev_b64 v[30:31], 3, v[26:27]
	v_mul_i32_i24_e32 v26, 6, v119
	v_add_co_u32_e32 v112, vcc, s8, v30
	v_addc_co_u32_e32 v113, vcc, v43, v31, vcc
	v_lshlrev_b64 v[30:31], 3, v[26:27]
	v_add_co_u32_e32 v104, vcc, s8, v30
	v_mul_i32_i24_e32 v26, 6, v97
	v_addc_co_u32_e32 v105, vcc, v43, v31, vcc
	v_lshlrev_b64 v[26:27], 3, v[26:27]
	v_add_co_u32_e32 v26, vcc, s8, v26
	v_mov_b32_e32 v29, v34
	v_lshlrev_b64 v[28:29], 3, v[28:29]
	v_addc_co_u32_e32 v27, vcc, v43, v27, vcc
	v_add_co_u32_e32 v28, vcc, v132, v28
	v_addc_co_u32_e32 v29, vcc, v133, v29, vcc
	s_waitcnt lgkmcnt(1)
	v_mov_b32_e32 v128, v108
	v_mov_b32_e32 v129, v106
	v_mov_b32_e32 v136, v87
	v_mov_b32_e32 v137, v89
	v_mul_i32_i24_e32 v95, 0xffffffe8, v119
	v_mul_i32_i24_e32 v120, 0xffffffe8, v97
	s_mov_b32 s11, s16
	s_mov_b32 s12, s16
	s_mov_b32 s13, s10
	s_mov_b32 s16, s17
	v_add_u32_e32 v43, 0x405, v159
	v_mul_i32_i24_e32 v55, 0xffffffe8, v173
	v_mul_i32_i24_e32 v63, 0xffffffe8, v169
	;; [unrolled: 1-line block ×4, first 2 shown]
	s_waitcnt vmcnt(5)
	v_mul_f32_e32 v31, v15, v102
	s_waitcnt vmcnt(4)
	v_mul_f32_e32 v32, v21, v93
	v_fma_f32 v99, v44, v14, -v31
	v_add_u32_e32 v31, 0x157, v159
	v_fma_f32 v117, v53, v20, -v32
	v_mad_u64_u32 v[32:33], s[8:9], s2, v31, 0
	v_mov_b32_e32 v34, v33
	v_mad_u64_u32 v[34:35], s[8:9], s3, v31, v[34:35]
	v_mov_b32_e32 v33, v34
	v_lshlrev_b64 v[32:33], 3, v[32:33]
	v_add_co_u32_e32 v124, vcc, v132, v32
	v_add_u32_e32 v31, 0x2ae, v159
	v_addc_co_u32_e32 v125, vcc, v133, v33, vcc
	v_mad_u64_u32 v[32:33], s[8:9], s2, v31, 0
	v_mov_b32_e32 v34, v33
	v_mad_u64_u32 v[34:35], s[8:9], s3, v31, v[34:35]
	v_mov_b32_e32 v33, v34
	v_lshlrev_b64 v[32:33], 3, v[32:33]
	v_add_co_u32_e32 v130, vcc, v132, v32
	v_mov_b32_e32 v126, v19
	s_waitcnt vmcnt(3)
	v_mov_b32_e32 v127, v22
	v_mul_f32_e32 v96, v18, v108
	v_addc_co_u32_e32 v131, vcc, v133, v33, vcc
	v_mov_b32_e32 v32, v100
	v_mov_b32_e32 v33, v46
	;; [unrolled: 1-line block ×4, first 2 shown]
	v_pk_mul_f32 v[126:127], v[126:127], v[128:129]
	v_mov_b32_e32 v134, v17
	v_mov_b32_e32 v135, v24
	v_fmac_f32_e32 v96, v100, v19
	v_pk_fma_f32 v[18:19], v[100:101], v[18:19], v[126:127] neg_lo:[0,0,1] neg_hi:[0,0,1]
	v_pk_fma_f32 v[126:127], v[32:33], v[34:35], v[126:127]
	v_mov_b32_e32 v34, v49
	v_mov_b32_e32 v35, v51
	;; [unrolled: 1-line block ×4, first 2 shown]
	v_pk_mul_f32 v[134:135], v[134:135], v[136:137]
	v_pk_fma_f32 v[128:129], v[34:35], v[128:129], v[134:135]
	v_mov_b32_e32 v35, v21
	v_mov_b32_e32 v136, v23
	;; [unrolled: 1-line block ×5, first 2 shown]
	v_mul_f32_e32 v30, v16, v87
	v_mov_b32_e32 v32, v49
	v_pk_mul_f32 v[20:21], v[136:137], v[20:21]
	v_fmac_f32_e32 v30, v49, v17
	v_pk_fma_f32 v[16:17], v[32:33], v[16:17], v[134:135] neg_lo:[0,0,1] neg_hi:[0,0,1]
	v_mov_b32_e32 v32, v46
	v_mov_b32_e32 v33, v53
	;; [unrolled: 1-line block ×3, first 2 shown]
	v_pk_fma_f32 v[136:137], v[46:47], v[22:23], v[20:21] neg_lo:[0,0,1] neg_hi:[0,0,1]
	v_mov_b32_e32 v22, v24
	v_mov_b32_e32 v23, v15
	v_mov_b32_e32 v24, v25
	v_mov_b32_e32 v25, v14
	v_mov_b32_e32 v14, v89
	v_mov_b32_e32 v15, v102
	v_pk_fma_f32 v[138:139], v[32:33], v[34:35], v[20:21]
	v_mov_b32_e32 v20, v51
	v_mov_b32_e32 v21, v44
	v_pk_mul_f32 v[14:15], v[24:25], v[14:15]
	v_pk_fma_f32 v[24:25], v[20:21], v[22:23], v[14:15] neg_lo:[0,0,1] neg_hi:[0,0,1]
	v_pk_fma_f32 v[14:15], v[20:21], v[22:23], v[14:15]
	v_mov_b32_e32 v19, v127
	v_mov_b32_e32 v17, v129
	;; [unrolled: 1-line block ×4, first 2 shown]
	v_add_f32_e32 v119, v30, v96
	v_add_f32_e32 v122, v99, v117
	v_pk_add_f32 v[134:135], v[16:17], v[18:19] neg_lo:[0,1] neg_hi:[0,1]
	v_pk_add_f32 v[140:141], v[24:25], v[136:137]
	v_pk_add_f32 v[16:17], v[16:17], v[18:19]
	v_add_f32_e32 v21, v141, v119
	v_add_f32_e32 v18, v122, v16
	v_mov_b32_e32 v19, v17
	v_mov_b32_e32 v20, v140
	v_pk_add_f32 v[18:19], v[18:19], v[20:21]
	global_load_dwordx4 v[32:35], v[26:27], off offset:2704
	global_load_dwordx4 v[20:23], v[26:27], off offset:2688
	v_mov_b32_e32 v98, v129
	v_mov_b32_e32 v116, v127
	global_load_dwordx4 v[126:129], v[26:27], off offset:2720
	v_mov_b32_e32 v31, v24
	v_mov_b32_e32 v24, v139
	;; [unrolled: 1-line block ×7, first 2 shown]
	v_pk_add_f32 v[14:15], v[14:15], v[24:25] neg_lo:[0,1] neg_hi:[0,1]
	v_pk_add_f32 v[136:137], v[122:123], v[118:119] neg_lo:[0,1] neg_hi:[0,1]
	;; [unrolled: 1-line block ×3, first 2 shown]
	v_mov_b32_e32 v15, v134
	v_pk_mul_f32 v[136:137], v[136:137], s[10:11]
	v_pk_add_f32 v[138:139], v[140:141], v[16:17] neg_lo:[0,1] neg_hi:[0,1]
	v_pk_add_f32 v[24:25], v[30:31], v[14:15]
	s_waitcnt lgkmcnt(0)
	v_pk_add_f32 v[12:13], v[12:13], v[18:19]
	v_mov_b32_e32 v15, v25
	v_pk_fma_f32 v[24:25], v[138:139], s[12:13], v[136:137]
	v_pk_fma_f32 v[142:143], v[18:19], s[16:17], v[12:13] op_sel_hi:[1,0,1] neg_lo:[1,0,0] neg_hi:[1,0,0]
	v_pk_add_f32 v[18:19], v[24:25], v[142:143]
	v_pk_add_f32 v[24:25], v[98:99], v[116:117] neg_lo:[0,1] neg_hi:[0,1]
	v_mov_b32_e32 v96, v14
	v_mov_b32_e32 v97, v31
	;; [unrolled: 1-line block ×4, first 2 shown]
	v_pk_add_f32 v[96:97], v[96:97], v[98:99] neg_lo:[0,1] neg_hi:[0,1]
	global_store_dwordx2 v[28:29], v[12:13], off
	v_pk_add_f32 v[12:13], v[24:25], v[30:31]
	v_pk_mul_f32 v[116:117], v[96:97], s[6:7]
	v_pk_add_f32 v[144:145], v[24:25], v[30:31] neg_lo:[0,1] neg_hi:[0,1]
	s_mov_b32 s8, s7
	s_mov_b32 s9, s6
	v_mov_b32_e32 v13, v25
	v_pk_fma_f32 v[96:97], v[144:145], s[8:9], v[116:117]
	v_pk_add_f32 v[28:29], v[12:13], v[14:15]
	v_pk_fma_f32 v[12:13], v[28:29], s[0:1], v[96:97] op_sel_hi:[1,0,1]
	v_pk_add_f32 v[146:147], v[18:19], v[12:13] neg_lo:[0,1] neg_hi:[0,1]
	v_pk_add_f32 v[148:149], v[18:19], v[12:13]
	v_mov_b32_e32 v12, v148
	v_mov_b32_e32 v13, v147
	global_store_dwordx2 v[124:125], v[12:13], off
	v_mad_u64_u32 v[12:13], s[18:19], s2, v43, 0
	v_mov_b32_e32 v18, v13
	v_mad_u64_u32 v[18:19], s[18:19], s3, v43, v[18:19]
	v_mov_b32_e32 v13, v18
	v_lshlrev_b64 v[12:13], 3, v[12:13]
	v_add_co_u32_e32 v124, vcc, v132, v12
	s_waitcnt vmcnt(7)
	v_mul_f32_e32 v12, v1, v86
	v_fma_f32 v49, v48, v0, -v12
	s_waitcnt vmcnt(5)
	v_mul_f32_e32 v12, v11, v91
	v_mov_b32_e32 v17, v119
	v_fma_f32 v87, v59, v10, -v12
	v_add_u32_e32 v12, v171, v55
	v_mov_b32_e32 v123, v141
	v_pk_mul_f32 v[26:27], v[138:139], s[12:13]
	v_pk_mul_f32 v[118:119], v[144:145], s[8:9]
	v_mov_b32_e32 v31, v134
	v_mov_b32_e32 v15, v25
	v_addc_co_u32_e32 v125, vcc, v133, v13, vcc
	ds_read2_b32 v[96:97], v176 offset0:81 offset1:130
	ds_read2_b32 v[98:99], v161 offset0:163 offset1:212
	ds_read_b32 v55, v12
	v_pk_add_f32 v[122:123], v[16:17], v[122:123] neg_lo:[0,1] neg_hi:[0,1]
	v_mov_b32_e32 v12, v136
	v_mov_b32_e32 v13, v27
	v_pk_add_f32 v[24:25], v[30:31], v[14:15] neg_lo:[0,1] neg_hi:[0,1]
	v_mov_b32_e32 v14, v116
	v_mov_b32_e32 v15, v119
	v_pk_fma_f32 v[12:13], v[122:123], s[14:15], v[12:13] op_sel_hi:[1,0,1] neg_lo:[1,0,1] neg_hi:[1,0,1]
	v_pk_fma_f32 v[14:15], v[24:25], s[4:5], v[14:15] op_sel_hi:[1,0,1] neg_lo:[1,0,1] neg_hi:[1,0,1]
	v_pk_add_f32 v[12:13], v[12:13], v[142:143]
	v_pk_fma_f32 v[14:15], v[28:29], s[0:1], v[14:15] op_sel_hi:[1,0,1]
	v_mov_b32_e32 v119, v117
	v_mov_b32_e32 v27, v137
	v_pk_add_f32 v[134:135], v[12:13], v[14:15] neg_lo:[0,1] neg_hi:[0,1]
	v_pk_add_f32 v[138:139], v[12:13], v[14:15]
	v_pk_fma_f32 v[24:25], v[24:25], s[4:5], v[118:119] op_sel_hi:[1,0,1] neg_lo:[0,0,1] neg_hi:[0,0,1]
	v_pk_fma_f32 v[118:119], v[122:123], s[14:15], v[26:27] op_sel_hi:[1,0,1] neg_lo:[0,0,1] neg_hi:[0,0,1]
	v_mov_b32_e32 v12, v138
	v_mov_b32_e32 v13, v135
	v_pk_fma_f32 v[116:117], v[28:29], s[0:1], v[24:25] op_sel_hi:[1,0,1]
	v_pk_add_f32 v[118:119], v[118:119], v[142:143]
	global_store_dwordx2 v[130:131], v[12:13], off
	v_pk_add_f32 v[122:123], v[118:119], v[116:117]
	v_pk_add_f32 v[130:131], v[118:119], v[116:117] neg_lo:[0,1] neg_hi:[0,1]
	v_add_u32_e32 v43, 0x55c, v159
	v_mov_b32_e32 v116, v130
	v_mov_b32_e32 v117, v123
	global_load_dwordx4 v[12:15], v[114:115], off offset:2704
	global_load_dwordx4 v[16:19], v[114:115], off offset:2688
	;; [unrolled: 1-line block ×4, first 2 shown]
	v_mov_b32_e32 v123, v131
	global_store_dwordx2 v[124:125], v[116:117], off
	v_mad_u64_u32 v[116:117], s[18:19], s2, v43, 0
	v_mov_b32_e32 v44, v117
	v_mad_u64_u32 v[118:119], s[18:19], s3, v43, v[44:45]
	v_mov_b32_e32 v117, v118
	v_lshlrev_b64 v[116:117], 3, v[116:117]
	v_add_co_u32_e32 v136, vcc, v132, v116
	v_addc_co_u32_e32 v137, vcc, v133, v117, vcc
	v_add_u32_e32 v43, 0x6b3, v159
	ds_read2_b32 v[118:119], v160 offset0:59 offset1:108
	ds_read2_b32 v[116:117], v172 offset0:141 offset1:190
	global_store_dwordx2 v[136:137], v[122:123], off
	v_mad_u64_u32 v[122:123], s[18:19], s2, v43, 0
	v_mov_b32_e32 v44, v123
	v_mad_u64_u32 v[130:131], s[18:19], s3, v43, v[44:45]
	v_mov_b32_e32 v123, v130
	v_lshlrev_b64 v[122:123], 3, v[122:123]
	v_add_co_u32_e32 v122, vcc, v132, v122
	s_waitcnt vmcnt(10)
	v_mul_f32_e32 v43, v21, v103
	v_addc_co_u32_e32 v123, vcc, v133, v123, vcc
	v_mov_b32_e32 v135, v139
	v_add_u32_e32 v46, 0x80a, v159
	v_fma_f32 v131, v45, v20, -v43
	s_waitcnt vmcnt(9) lgkmcnt(1)
	v_mul_f32_e32 v43, v129, v118
	v_add_u32_e32 v44, v174, v120
	global_store_dwordx2 v[122:123], v[134:135], off
	v_mad_u64_u32 v[122:123], s[18:19], s2, v46, 0
	v_fma_f32 v137, v38, v128, -v43
	ds_read_b32 v43, v44
	v_mov_b32_e32 v44, v123
	v_mad_u64_u32 v[134:135], s[18:19], s3, v46, v[44:45]
	v_mov_b32_e32 v123, v134
	v_lshlrev_b64 v[122:123], 3, v[122:123]
	v_add_co_u32_e32 v122, vcc, v132, v122
	v_addc_co_u32_e32 v123, vcc, v133, v123, vcc
	v_mov_b32_e32 v147, v149
	global_store_dwordx2 v[122:123], v[146:147], off
	v_mad_u64_u32 v[122:123], s[18:19], s2, v121, 0
	v_mov_b32_e32 v44, v123
	ds_read2_b32 v[124:125], v175 offset0:95 offset1:144
	v_mad_u64_u32 v[120:121], s[18:19], s3, v121, v[44:45]
	v_mov_b32_e32 v123, v120
	v_add_u32_e32 v46, 0x188, v159
	v_lshlrev_b64 v[120:121], 3, v[122:123]
	v_mad_u64_u32 v[122:123], s[18:19], s2, v46, 0
	v_mov_b32_e32 v44, v123
	v_mad_u64_u32 v[134:135], s[18:19], s3, v46, v[44:45]
	v_mov_b32_e32 v138, v127
	v_mov_b32_e32 v139, v32
	;; [unrolled: 1-line block ×3, first 2 shown]
	v_mul_f32_e32 v100, v126, v109
	v_mov_b32_e32 v123, v134
	v_mov_b32_e32 v44, v101
	;; [unrolled: 1-line block ×5, first 2 shown]
	v_pk_mul_f32 v[108:109], v[138:139], v[106:107]
	v_mov_b32_e32 v138, v23
	v_mov_b32_e32 v139, v34
	s_waitcnt lgkmcnt(0)
	v_mov_b32_e32 v140, v124
	v_mov_b32_e32 v141, v116
	v_fmac_f32_e32 v100, v101, v127
	v_pk_fma_f32 v[126:127], v[44:45], v[126:127], v[108:109] neg_lo:[0,0,1] neg_hi:[0,0,1]
	v_pk_fma_f32 v[108:109], v[46:47], v[134:135], v[108:109]
	v_mov_b32_e32 v134, v40
	v_mov_b32_e32 v135, v36
	v_pk_mul_f32 v[138:139], v[138:139], v[140:141]
	v_mov_b32_e32 v140, v22
	v_mov_b32_e32 v141, v35
	v_pk_fma_f32 v[134:135], v[134:135], v[140:141], v[138:139]
	v_mov_b32_e32 v141, v128
	v_mov_b32_e32 v140, v33
	;; [unrolled: 1-line block ×4, first 2 shown]
	v_mul_f32_e32 v46, v22, v124
	v_pk_mul_f32 v[106:107], v[140:141], v[106:107]
	v_mov_b32_e32 v140, v47
	v_mov_b32_e32 v141, v38
	;; [unrolled: 1-line block ×4, first 2 shown]
	v_fmac_f32_e32 v46, v40, v23
	v_pk_fma_f32 v[128:129], v[140:141], v[128:129], v[106:107]
	v_pk_fma_f32 v[106:107], v[38:39], v[32:33], v[106:107] neg_lo:[0,0,1] neg_hi:[0,0,1]
	v_mov_b32_e32 v32, v34
	v_mov_b32_e32 v34, v35
	v_add_u32_e32 v38, 0x2df, v159
	v_mov_b32_e32 v35, v20
	v_mov_b32_e32 v102, v116
	v_add_f32_e32 v23, v46, v100
	v_mov_b32_e32 v33, v21
	v_mad_u64_u32 v[20:21], s[18:19], s2, v38, 0
	v_mov_b32_e32 v44, v36
	v_pk_mul_f32 v[34:35], v[34:35], v[102:103]
	v_pk_fma_f32 v[138:139], v[40:41], v[22:23], v[138:139] neg_lo:[0,0,1] neg_hi:[0,0,1]
	v_mov_b32_e32 v22, v21
	v_pk_fma_f32 v[102:103], v[44:45], v[32:33], v[34:35] neg_lo:[0,0,1] neg_hi:[0,0,1]
	v_pk_fma_f32 v[44:45], v[44:45], v[32:33], v[34:35]
	v_mad_u64_u32 v[140:141], s[18:19], s3, v38, v[22:23]
	v_mov_b32_e32 v127, v109
	v_mov_b32_e32 v139, v135
	v_mov_b32_e32 v107, v129
	v_mov_b32_e32 v103, v45
	v_add_f32_e32 v142, v131, v137
	v_mov_b32_e32 v21, v140
	v_pk_add_f32 v[140:141], v[138:139], v[126:127] neg_lo:[0,1] neg_hi:[0,1]
	v_pk_add_f32 v[144:145], v[102:103], v[106:107]
	v_pk_add_f32 v[126:127], v[138:139], v[126:127]
	v_add_f32_e32 v33, v145, v23
	v_add_f32_e32 v34, v142, v126
	v_mov_b32_e32 v35, v127
	v_mov_b32_e32 v32, v144
	v_pk_add_f32 v[138:139], v[34:35], v[32:33]
	global_load_dwordx4 v[32:35], v[104:105], off offset:2720
	v_mov_b32_e32 v143, v127
	v_mov_b32_e32 v22, v144
	;; [unrolled: 1-line block ×5, first 2 shown]
	v_pk_add_f32 v[104:105], v[142:143], v[22:23] neg_lo:[0,1] neg_hi:[0,1]
	v_mov_b32_e32 v101, v106
	v_mov_b32_e32 v22, v45
	;; [unrolled: 1-line block ×4, first 2 shown]
	v_add_co_u32_e32 v120, vcc, v132, v120
	v_pk_mul_f32 v[128:129], v[104:105], s[10:11]
	v_pk_add_f32 v[46:47], v[46:47], v[100:101] neg_lo:[0,1] neg_hi:[0,1]
	v_pk_add_f32 v[44:45], v[22:23], v[102:103] neg_lo:[0,1] neg_hi:[0,1]
	;; [unrolled: 1-line block ×3, first 2 shown]
	v_addc_co_u32_e32 v121, vcc, v133, v121, vcc
	v_mov_b32_e32 v45, v140
	v_pk_add_f32 v[42:43], v[42:43], v[138:139]
	v_mov_b32_e32 v102, v44
	v_mov_b32_e32 v103, v47
	;; [unrolled: 1-line block ×4, first 2 shown]
	v_pk_add_f32 v[100:101], v[46:47], v[44:45]
	v_pk_fma_f32 v[138:139], v[138:139], s[16:17], v[42:43] op_sel_hi:[1,0,1] neg_lo:[1,0,0] neg_hi:[1,0,0]
	v_pk_add_f32 v[102:103], v[102:103], v[106:107] neg_lo:[0,1] neg_hi:[0,1]
	global_store_dwordx2 v[120:121], v[42:43], off
	v_pk_add_f32 v[42:43], v[104:105], v[46:47]
	v_pk_add_f32 v[146:147], v[144:145], v[126:127] neg_lo:[0,1] neg_hi:[0,1]
	v_mov_b32_e32 v45, v101
	v_pk_mul_f32 v[130:131], v[102:103], s[6:7]
	v_pk_add_f32 v[134:135], v[104:105], v[46:47] neg_lo:[0,1] neg_hi:[0,1]
	v_mov_b32_e32 v43, v105
	v_pk_fma_f32 v[100:101], v[146:147], s[12:13], v[128:129]
	v_pk_fma_f32 v[102:103], v[134:135], s[8:9], v[130:131]
	v_pk_add_f32 v[42:43], v[42:43], v[44:45]
	v_lshlrev_b64 v[122:123], 3, v[122:123]
	v_pk_add_f32 v[100:101], v[100:101], v[138:139]
	v_pk_fma_f32 v[102:103], v[42:43], s[0:1], v[102:103] op_sel_hi:[1,0,1]
	v_add_co_u32_e32 v122, vcc, v132, v122
	v_pk_add_f32 v[136:137], v[100:101], v[102:103] neg_lo:[0,1] neg_hi:[0,1]
	v_pk_add_f32 v[100:101], v[100:101], v[102:103]
	v_addc_co_u32_e32 v123, vcc, v133, v123, vcc
	v_add_u32_e32 v36, 0x436, v159
	v_mov_b32_e32 v102, v100
	v_mov_b32_e32 v103, v137
	global_store_dwordx2 v[122:123], v[102:103], off
	v_mad_u64_u32 v[102:103], s[18:19], s2, v36, 0
	v_mov_b32_e32 v127, v23
	v_mov_b32_e32 v143, v145
	;; [unrolled: 1-line block ×3, first 2 shown]
	v_pk_add_f32 v[126:127], v[126:127], v[142:143] neg_lo:[0,1] neg_hi:[0,1]
	v_pk_mul_f32 v[142:143], v[146:147], s[12:13]
	v_pk_mul_f32 v[122:123], v[134:135], s[8:9]
	v_mov_b32_e32 v47, v140
	v_mov_b32_e32 v45, v105
	v_mad_u64_u32 v[106:107], s[18:19], s3, v36, v[22:23]
	v_mov_b32_e32 v22, v128
	v_mov_b32_e32 v23, v143
	v_pk_add_f32 v[44:45], v[46:47], v[44:45] neg_lo:[0,1] neg_hi:[0,1]
	v_mov_b32_e32 v46, v130
	v_mov_b32_e32 v47, v123
	v_pk_fma_f32 v[22:23], v[126:127], s[14:15], v[22:23] op_sel_hi:[1,0,1] neg_lo:[1,0,1] neg_hi:[1,0,1]
	v_pk_fma_f32 v[46:47], v[44:45], s[4:5], v[46:47] op_sel_hi:[1,0,1] neg_lo:[1,0,1] neg_hi:[1,0,1]
	v_lshlrev_b64 v[20:21], 3, v[20:21]
	v_pk_add_f32 v[22:23], v[22:23], v[138:139]
	v_pk_fma_f32 v[46:47], v[42:43], s[0:1], v[46:47] op_sel_hi:[1,0,1]
	v_add_co_u32_e32 v20, vcc, v132, v20
	v_pk_add_f32 v[134:135], v[22:23], v[46:47] neg_lo:[0,1] neg_hi:[0,1]
	v_pk_add_f32 v[46:47], v[22:23], v[46:47]
	v_addc_co_u32_e32 v21, vcc, v133, v21, vcc
	v_add_u32_e32 v36, 0x58d, v159
	v_mov_b32_e32 v22, v46
	v_mov_b32_e32 v23, v135
	global_store_dwordx2 v[20:21], v[22:23], off
	v_mad_u64_u32 v[20:21], s[18:19], s2, v36, 0
	v_mov_b32_e32 v103, v106
	v_mov_b32_e32 v22, v21
	;; [unrolled: 1-line block ×3, first 2 shown]
	ds_read2_b32 v[120:121], v168 offset0:185 offset1:234
	v_lshlrev_b64 v[102:103], 3, v[102:103]
	v_mad_u64_u32 v[22:23], s[18:19], s3, v36, v[22:23]
	v_pk_fma_f32 v[44:45], v[44:45], s[4:5], v[122:123] op_sel_hi:[1,0,1] neg_lo:[0,0,1] neg_hi:[0,0,1]
	v_mov_b32_e32 v143, v129
	v_add_co_u32_e32 v148, vcc, v132, v102
	v_mov_b32_e32 v21, v22
	v_pk_fma_f32 v[42:43], v[42:43], s[0:1], v[44:45] op_sel_hi:[1,0,1]
	v_pk_fma_f32 v[44:45], v[126:127], s[14:15], v[142:143] op_sel_hi:[1,0,1] neg_lo:[0,0,1] neg_hi:[0,0,1]
	v_addc_co_u32_e32 v149, vcc, v133, v103, vcc
	v_lshlrev_b64 v[20:21], 3, v[20:21]
	v_pk_add_f32 v[44:45], v[44:45], v[138:139]
	v_add_co_u32_e32 v140, vcc, v132, v20
	v_pk_add_f32 v[126:127], v[44:45], v[42:43]
	v_pk_add_f32 v[42:43], v[44:45], v[42:43] neg_lo:[0,1] neg_hi:[0,1]
	v_addc_co_u32_e32 v141, vcc, v133, v21, vcc
	global_load_dwordx4 v[20:23], v[114:115], off offset:2720
	s_waitcnt vmcnt(9) lgkmcnt(0)
	v_mul_f32_e32 v36, v29, v120
	v_add_u32_e32 v38, 0x6e4, v159
	v_mov_b32_e32 v44, v42
	v_mov_b32_e32 v45, v127
	v_fma_f32 v131, v80, v28, -v36
	s_waitcnt vmcnt(4)
	v_mul_f32_e32 v36, v35, v119
	global_store_dwordx2 v[148:149], v[44:45], off
	v_mad_u64_u32 v[44:45], s[18:19], s2, v38, 0
	v_fma_f32 v145, v39, v34, -v36
	v_mov_b32_e32 v36, v45
	v_mad_u64_u32 v[128:129], s[18:19], s3, v38, v[36:37]
	v_add_u32_e32 v38, 0x83b, v159
	v_mov_b32_e32 v127, v43
	v_mad_u64_u32 v[42:43], s[18:19], s2, v38, 0
	v_mov_b32_e32 v45, v128
	v_mov_b32_e32 v36, v43
	v_lshlrev_b64 v[44:45], 3, v[44:45]
	global_store_dwordx2 v[140:141], v[126:127], off
	v_mad_u64_u32 v[126:127], s[18:19], s3, v38, v[36:37]
	v_add_co_u32_e32 v44, vcc, v132, v44
	v_mov_b32_e32 v43, v126
	v_addc_co_u32_e32 v45, vcc, v133, v45, vcc
	v_lshlrev_b64 v[42:43], 3, v[42:43]
	v_add_co_u32_e32 v42, vcc, v132, v42
	v_addc_co_u32_e32 v43, vcc, v133, v43, vcc
	v_mov_b32_e32 v135, v47
	v_mov_b32_e32 v137, v101
	v_add_u32_e32 v38, 0x62, v159
	global_store_dwordx2 v[44:45], v[134:135], off
	global_store_dwordx2 v[42:43], v[136:137], off
	v_mad_u64_u32 v[42:43], s[18:19], s2, v38, 0
	v_mov_b32_e32 v36, v43
	v_mad_u64_u32 v[44:45], s[18:19], s3, v38, v[36:37]
	v_mov_b32_e32 v43, v44
	v_lshlrev_b64 v[42:43], 3, v[42:43]
	v_add_co_u32_e32 v134, vcc, v132, v42
	v_add_u32_e32 v38, 0x1b9, v159
	v_addc_co_u32_e32 v135, vcc, v133, v43, vcc
	v_mad_u64_u32 v[42:43], s[18:19], s2, v38, 0
	v_mov_b32_e32 v36, v43
	v_mad_u64_u32 v[44:45], s[18:19], s3, v38, v[36:37]
	v_mov_b32_e32 v43, v44
	v_lshlrev_b64 v[42:43], 3, v[42:43]
	v_add_co_u32_e32 v136, vcc, v132, v42
	v_add_u32_e32 v38, 0x310, v159
	v_addc_co_u32_e32 v137, vcc, v133, v43, vcc
	v_mad_u64_u32 v[42:43], s[18:19], s2, v38, 0
	v_mov_b32_e32 v36, v43
	v_mad_u64_u32 v[44:45], s[18:19], s3, v38, v[36:37]
	v_mov_b32_e32 v43, v44
	v_lshlrev_b64 v[42:43], 3, v[42:43]
	v_add_co_u32_e32 v140, vcc, v132, v42
	v_add_u32_e32 v38, 0x467, v159
	ds_read2_b32 v[122:123], v166 offset0:103 offset1:152
	ds_read2_b32 v[114:115], v167 offset0:21 offset1:70
	v_addc_co_u32_e32 v141, vcc, v133, v43, vcc
	v_mad_u64_u32 v[42:43], s[18:19], s2, v38, 0
	v_mov_b32_e32 v36, v43
	v_mad_u64_u32 v[44:45], s[18:19], s3, v38, v[36:37]
	v_mov_b32_e32 v43, v44
	v_lshlrev_b64 v[42:43], 3, v[42:43]
	v_add_co_u32_e32 v128, vcc, v132, v42
	v_mov_b32_e32 v44, v33
	v_mov_b32_e32 v45, v24
	s_waitcnt lgkmcnt(0)
	v_mov_b32_e32 v46, v114
	v_mov_b32_e32 v47, v122
	v_addc_co_u32_e32 v129, vcc, v133, v43, vcc
	v_mov_b32_e32 v42, v84
	v_mov_b32_e32 v43, v82
	v_pk_mul_f32 v[44:45], v[44:45], v[46:47]
	v_mov_b32_e32 v46, v32
	v_mov_b32_e32 v47, v25
	v_mul_f32_e32 v138, v30, v125
	v_pk_fma_f32 v[142:143], v[42:43], v[46:47], v[44:45]
	v_mov_b32_e32 v116, v125
	v_mov_b32_e32 v42, v31
	;; [unrolled: 1-line block ×3, first 2 shown]
	v_fmac_f32_e32 v138, v41, v31
	v_mov_b32_e32 v38, v41
	v_mov_b32_e32 v36, v41
	v_mov_b32_e32 v40, v30
	v_mov_b32_e32 v41, v27
	v_pk_mul_f32 v[42:43], v[42:43], v[116:117]
	v_pk_fma_f32 v[146:147], v[36:37], v[40:41], v[42:43]
	v_mov_b32_e32 v41, v34
	v_mov_b32_e32 v40, v25
	;; [unrolled: 1-line block ×3, first 2 shown]
	v_pk_fma_f32 v[30:31], v[38:39], v[30:31], v[42:43] neg_lo:[0,0,1] neg_hi:[0,0,1]
	v_pk_mul_f32 v[40:41], v[40:41], v[118:119]
	v_mov_b32_e32 v38, v82
	v_mov_b32_e32 v34, v24
	v_pk_fma_f32 v[34:35], v[38:39], v[34:35], v[40:41]
	v_mov_b32_e32 v38, v26
	v_mov_b32_e32 v39, v29
	;; [unrolled: 1-line block ×6, first 2 shown]
	v_mul_f32_e32 v124, v32, v114
	v_mov_b32_e32 v36, v37
	v_mov_b32_e32 v37, v80
	v_pk_mul_f32 v[26:27], v[26:27], v[28:29]
	v_fmac_f32_e32 v124, v84, v33
	v_pk_fma_f32 v[32:33], v[84:85], v[32:33], v[44:45] neg_lo:[0,0,1] neg_hi:[0,0,1]
	v_pk_fma_f32 v[24:25], v[82:83], v[24:25], v[40:41] neg_lo:[0,0,1] neg_hi:[0,0,1]
	;; [unrolled: 1-line block ×3, first 2 shown]
	v_pk_fma_f32 v[26:27], v[36:37], v[38:39], v[26:27]
	v_mov_b32_e32 v33, v143
	v_mov_b32_e32 v31, v147
	;; [unrolled: 1-line block ×4, first 2 shown]
	v_add_f32_e32 v127, v138, v124
	v_add_f32_e32 v148, v131, v145
	v_pk_add_f32 v[150:151], v[30:31], v[32:33] neg_lo:[0,1] neg_hi:[0,1]
	v_pk_add_f32 v[152:153], v[28:29], v[24:25]
	v_pk_add_f32 v[30:31], v[30:31], v[32:33]
	v_add_f32_e32 v37, v153, v127
	v_add_f32_e32 v32, v148, v30
	v_mov_b32_e32 v33, v31
	v_mov_b32_e32 v36, v152
	ds_read2_b32 v[108:109], v170 offset0:27 offset1:76
	v_pk_add_f32 v[32:33], v[32:33], v[36:37]
	global_load_dwordx4 v[40:43], v[112:113], off offset:2704
	global_load_dwordx4 v[36:39], v[112:113], off offset:2688
	;; [unrolled: 1-line block ×3, first 2 shown]
	v_add_u32_e32 v53, v164, v95
	ds_read_b32 v95, v53
	v_mov_b32_e32 v149, v31
	v_mov_b32_e32 v126, v152
	;; [unrolled: 1-line block ×5, first 2 shown]
	v_pk_add_f32 v[24:25], v[148:149], v[126:127] neg_lo:[0,1] neg_hi:[0,1]
	v_mov_b32_e32 v125, v29
	v_mov_b32_e32 v26, v27
	s_waitcnt lgkmcnt(0)
	v_pk_add_f32 v[94:95], v[94:95], v[32:33]
	v_mov_b32_e32 v130, v147
	v_mov_b32_e32 v144, v143
	v_pk_mul_f32 v[154:155], v[24:25], s[10:11]
	v_pk_add_f32 v[24:25], v[138:139], v[124:125] neg_lo:[0,1] neg_hi:[0,1]
	v_pk_add_f32 v[26:27], v[26:27], v[28:29] neg_lo:[0,1] neg_hi:[0,1]
	v_pk_fma_f32 v[138:139], v[32:33], s[16:17], v[94:95] op_sel_hi:[1,0,1] neg_lo:[1,0,0] neg_hi:[1,0,0]
	v_pk_add_f32 v[32:33], v[130:131], v[144:145] neg_lo:[0,1] neg_hi:[0,1]
	v_mov_b32_e32 v27, v150
	v_mov_b32_e32 v112, v26
	;; [unrolled: 1-line block ×5, first 2 shown]
	v_pk_add_f32 v[28:29], v[24:25], v[26:27]
	v_pk_add_f32 v[112:113], v[112:113], v[116:117] neg_lo:[0,1] neg_hi:[0,1]
	global_store_dwordx2 v[134:135], v[94:95], off
	v_pk_add_f32 v[94:95], v[32:33], v[24:25]
	v_pk_add_f32 v[34:35], v[152:153], v[30:31] neg_lo:[0,1] neg_hi:[0,1]
	v_mov_b32_e32 v27, v29
	v_pk_mul_f32 v[124:125], v[112:113], s[6:7]
	v_pk_add_f32 v[130:131], v[32:33], v[24:25] neg_lo:[0,1] neg_hi:[0,1]
	v_mov_b32_e32 v95, v33
	v_pk_fma_f32 v[28:29], v[34:35], s[12:13], v[154:155]
	v_pk_fma_f32 v[112:113], v[130:131], s[8:9], v[124:125]
	v_pk_add_f32 v[134:135], v[94:95], v[26:27]
	v_pk_add_f32 v[28:29], v[28:29], v[138:139]
	v_pk_fma_f32 v[94:95], v[134:135], s[0:1], v[112:113] op_sel_hi:[1,0,1]
	v_pk_add_f32 v[142:143], v[28:29], v[94:95] neg_lo:[0,1] neg_hi:[0,1]
	v_pk_add_f32 v[144:145], v[28:29], v[94:95]
	v_add_u32_e32 v53, 0x5be, v159
	v_mov_b32_e32 v28, v144
	v_mov_b32_e32 v29, v143
	global_store_dwordx2 v[136:137], v[28:29], off
	v_mad_u64_u32 v[28:29], s[18:19], s2, v53, 0
	v_mov_b32_e32 v32, v29
	v_mad_u64_u32 v[94:95], s[18:19], s3, v53, v[32:33]
	v_mov_b32_e32 v29, v94
	v_lshlrev_b64 v[28:29], 3, v[28:29]
	v_add_co_u32_e32 v136, vcc, v132, v28
	s_waitcnt vmcnt(9)
	v_mul_f32_e32 v25, v23, v90
	v_mov_b32_e32 v31, v127
	v_mov_b32_e32 v149, v153
	v_addc_co_u32_e32 v137, vcc, v133, v29, vcc
	v_fma_f32 v113, v58, v22, -v25
	v_pk_add_f32 v[146:147], v[30:31], v[148:149] neg_lo:[0,1] neg_hi:[0,1]
	v_pk_mul_f32 v[148:149], v[34:35], s[12:13]
	v_pk_mul_f32 v[28:29], v[130:131], s[8:9]
	v_mov_b32_e32 v25, v150
	v_mov_b32_e32 v27, v33
	;; [unrolled: 1-line block ×4, first 2 shown]
	v_pk_add_f32 v[24:25], v[24:25], v[26:27] neg_lo:[0,1] neg_hi:[0,1]
	v_mov_b32_e32 v26, v124
	v_mov_b32_e32 v27, v29
	v_pk_fma_f32 v[30:31], v[146:147], s[14:15], v[30:31] op_sel_hi:[1,0,1] neg_lo:[1,0,1] neg_hi:[1,0,1]
	v_pk_fma_f32 v[26:27], v[24:25], s[4:5], v[26:27] op_sel_hi:[1,0,1] neg_lo:[1,0,1] neg_hi:[1,0,1]
	v_pk_add_f32 v[30:31], v[30:31], v[138:139]
	v_pk_fma_f32 v[26:27], v[134:135], s[0:1], v[26:27] op_sel_hi:[1,0,1]
	v_pk_add_f32 v[130:131], v[30:31], v[26:27] neg_lo:[0,1] neg_hi:[0,1]
	v_pk_add_f32 v[150:151], v[30:31], v[26:27]
	v_mov_b32_e32 v26, v150
	v_mov_b32_e32 v27, v131
	global_store_dwordx2 v[140:141], v[26:27], off
	v_mov_b32_e32 v29, v125
	ds_read2_b32 v[118:119], v167 offset0:119 offset1:168
	ds_read2_b32 v[116:117], v166 offset0:201 offset1:250
	v_pk_fma_f32 v[32:33], v[24:25], s[4:5], v[28:29] op_sel_hi:[1,0,1] neg_lo:[0,0,1] neg_hi:[0,0,1]
	global_load_dwordx4 v[24:27], v[110:111], off offset:2704
	global_load_dwordx4 v[28:31], v[110:111], off offset:2688
	v_mov_b32_e32 v149, v155
	v_pk_fma_f32 v[140:141], v[146:147], s[14:15], v[148:149] op_sel_hi:[1,0,1] neg_lo:[0,0,1] neg_hi:[0,0,1]
	v_pk_fma_f32 v[134:135], v[134:135], s[0:1], v[32:33] op_sel_hi:[1,0,1]
	v_pk_add_f32 v[138:139], v[140:141], v[138:139]
	v_mul_f32_e32 v51, v17, v109
	ds_read2_b32 v[124:125], v160 offset0:157 offset1:206
	v_pk_add_f32 v[140:141], v[138:139], v[134:135]
	v_pk_add_f32 v[134:135], v[138:139], v[134:135] neg_lo:[0,1] neg_hi:[0,1]
	v_fma_f32 v95, v65, v16, -v51
	v_add_u32_e32 v51, v158, v63
	v_add_u32_e32 v63, 0x715, v159
	v_mov_b32_e32 v138, v134
	v_mov_b32_e32 v139, v141
	global_load_dwordx4 v[32:35], v[110:111], off offset:2720
	ds_read2_b32 v[110:111], v162 offset0:111 offset1:160
	ds_read2_b32 v[126:127], v161 offset0:65 offset1:114
	global_store_dwordx2 v[128:129], v[138:139], off
	v_mad_u64_u32 v[128:129], s[18:19], s2, v63, 0
	v_mov_b32_e32 v80, v129
	s_waitcnt vmcnt(8)
	v_mul_f32_e32 v53, v37, v121
	v_mad_u64_u32 v[138:139], s[18:19], s3, v63, v[80:81]
	v_fma_f32 v139, v81, v36, -v53
	s_waitcnt vmcnt(7) lgkmcnt(2)
	v_mul_f32_e32 v53, v47, v124
	v_mov_b32_e32 v129, v138
	v_fma_f32 v147, v74, v46, -v53
	v_add_u32_e32 v53, 0x86c, v159
	v_lshlrev_b64 v[128:129], 3, v[128:129]
	v_mov_b32_e32 v141, v135
	v_mad_u64_u32 v[134:135], s[18:19], s2, v53, 0
	v_add_co_u32_e32 v128, vcc, v132, v128
	v_mov_b32_e32 v80, v135
	v_addc_co_u32_e32 v129, vcc, v133, v129, vcc
	global_store_dwordx2 v[136:137], v[140:141], off
	v_mad_u64_u32 v[136:137], s[18:19], s3, v53, v[80:81]
	v_mov_b32_e32 v131, v151
	v_add_u32_e32 v53, 0x93, v159
	global_store_dwordx2 v[128:129], v[130:131], off
	v_mad_u64_u32 v[128:129], s[18:19], s2, v53, 0
	v_mov_b32_e32 v135, v136
	v_mov_b32_e32 v80, v129
	v_lshlrev_b64 v[134:135], 3, v[134:135]
	v_mad_u64_u32 v[130:131], s[18:19], s3, v53, v[80:81]
	v_add_co_u32_e32 v134, vcc, v132, v134
	v_mov_b32_e32 v129, v130
	v_addc_co_u32_e32 v135, vcc, v133, v135, vcc
	v_mov_b32_e32 v143, v145
	v_lshlrev_b64 v[128:129], 3, v[128:129]
	global_store_dwordx2 v[134:135], v[142:143], off
	v_add_co_u32_e32 v134, vcc, v132, v128
	v_add_u32_e32 v53, 0x1ea, v159
	v_addc_co_u32_e32 v135, vcc, v133, v129, vcc
	v_mad_u64_u32 v[128:129], s[18:19], s2, v53, 0
	v_mov_b32_e32 v80, v129
	v_mad_u64_u32 v[130:131], s[18:19], s3, v53, v[80:81]
	v_mov_b32_e32 v129, v130
	v_lshlrev_b64 v[128:129], 3, v[128:129]
	v_add_co_u32_e32 v136, vcc, v132, v128
	v_add_u32_e32 v53, 0x341, v159
	v_addc_co_u32_e32 v137, vcc, v133, v129, vcc
	v_mad_u64_u32 v[128:129], s[18:19], s2, v53, 0
	v_mov_b32_e32 v80, v129
	v_mad_u64_u32 v[130:131], s[18:19], s3, v53, v[80:81]
	v_mov_b32_e32 v129, v130
	v_lshlrev_b64 v[128:129], 3, v[128:129]
	v_add_co_u32_e32 v130, vcc, v132, v128
	v_add_u32_e32 v53, 0x498, v159
	v_addc_co_u32_e32 v131, vcc, v133, v129, vcc
	v_mad_u64_u32 v[128:129], s[18:19], s2, v53, 0
	v_mov_b32_e32 v80, v129
	v_mad_u64_u32 v[142:143], s[18:19], s3, v53, v[80:81]
	v_mov_b32_e32 v144, v45
	v_mov_b32_e32 v145, v40
	;; [unrolled: 1-line block ×3, first 2 shown]
	v_mul_f32_e32 v140, v44, v115
	v_mov_b32_e32 v129, v142
	v_mov_b32_e32 v80, v85
	v_mov_b32_e32 v82, v85
	v_mov_b32_e32 v142, v44
	v_mov_b32_e32 v143, v41
	v_pk_mul_f32 v[144:145], v[144:145], v[122:123]
	v_mov_b32_e32 v148, v39
	v_mov_b32_e32 v149, v42
	s_waitcnt lgkmcnt(0)
	v_mov_b32_e32 v150, v126
	v_mov_b32_e32 v151, v110
	v_fmac_f32_e32 v140, v85, v45
	v_pk_fma_f32 v[44:45], v[80:81], v[44:45], v[144:145] neg_lo:[0,0,1] neg_hi:[0,0,1]
	v_pk_fma_f32 v[142:143], v[82:83], v[142:143], v[144:145]
	v_mov_b32_e32 v144, v76
	v_mov_b32_e32 v145, v72
	v_pk_mul_f32 v[148:149], v[148:149], v[150:151]
	v_mov_b32_e32 v150, v38
	v_mov_b32_e32 v151, v43
	v_pk_fma_f32 v[144:145], v[144:145], v[150:151], v[148:149]
	v_mov_b32_e32 v151, v46
	v_mov_b32_e32 v150, v41
	;; [unrolled: 1-line block ×4, first 2 shown]
	v_pk_mul_f32 v[122:123], v[150:151], v[122:123]
	v_mov_b32_e32 v150, v83
	v_mov_b32_e32 v151, v74
	;; [unrolled: 1-line block ×3, first 2 shown]
	v_pk_fma_f32 v[46:47], v[150:151], v[46:47], v[122:123]
	v_mov_b32_e32 v46, v83
	v_pk_fma_f32 v[40:41], v[46:47], v[40:41], v[122:123] neg_lo:[0,0,1] neg_hi:[0,0,1]
	v_add_u32_e32 v41, 0x5ef, v159
	v_mov_b32_e32 v122, v43
	v_mov_b32_e32 v43, v37
	;; [unrolled: 1-line block ×3, first 2 shown]
	v_mad_u64_u32 v[36:37], s[18:19], s2, v41, 0
	v_mul_f32_e32 v82, v38, v126
	v_mov_b32_e32 v46, v37
	v_mov_b32_e32 v120, v110
	v_lshlrev_b64 v[128:129], 3, v[128:129]
	v_fmac_f32_e32 v82, v76, v39
	v_pk_fma_f32 v[38:39], v[76:77], v[38:39], v[148:149] neg_lo:[0,0,1] neg_hi:[0,0,1]
	v_mad_u64_u32 v[148:149], s[18:19], s3, v41, v[46:47]
	v_mov_b32_e32 v80, v72
	v_pk_mul_f32 v[120:121], v[122:123], v[120:121]
	v_add_co_u32_e32 v128, vcc, v132, v128
	v_mov_b32_e32 v37, v148
	v_pk_fma_f32 v[122:123], v[80:81], v[42:43], v[120:121] neg_lo:[0,0,1] neg_hi:[0,0,1]
	v_pk_fma_f32 v[42:43], v[80:81], v[42:43], v[120:121]
	v_addc_co_u32_e32 v129, vcc, v133, v129, vcc
	v_lshlrev_b64 v[36:37], 3, v[36:37]
	v_mov_b32_e32 v45, v143
	v_mov_b32_e32 v39, v145
	;; [unrolled: 1-line block ×4, first 2 shown]
	v_add_f32_e32 v151, v82, v140
	v_add_f32_e32 v152, v139, v147
	v_add_co_u32_e32 v148, vcc, v132, v36
	v_pk_add_f32 v[80:81], v[122:123], v[40:41]
	v_pk_add_f32 v[154:155], v[38:39], v[44:45]
	v_addc_co_u32_e32 v149, vcc, v133, v37, vcc
	v_pk_add_f32 v[36:37], v[38:39], v[44:45] neg_lo:[0,1] neg_hi:[0,1]
	v_add_f32_e32 v121, v81, v151
	v_add_f32_e32 v38, v152, v154
	v_mov_b32_e32 v39, v155
	v_mov_b32_e32 v120, v80
	v_pk_add_f32 v[44:45], v[38:39], v[120:121]
	s_waitcnt vmcnt(5)
	v_mul_f32_e32 v39, v29, v108
	v_fma_f32 v41, v64, v28, -v39
	v_add_u32_e32 v39, v156, v71
	ds_read_b32 v63, v51
	v_add_u32_e32 v51, v157, v79
	ds_read_b32 v79, v39
	v_mov_b32_e32 v83, v122
	v_mov_b32_e32 v46, v47
	;; [unrolled: 1-line block ×7, first 2 shown]
	v_pk_add_f32 v[82:83], v[82:83], v[140:141] neg_lo:[0,1] neg_hi:[0,1]
	v_pk_add_f32 v[46:47], v[40:41], v[46:47] neg_lo:[0,1] neg_hi:[0,1]
	s_waitcnt lgkmcnt(0)
	v_pk_add_f32 v[78:79], v[78:79], v[44:45]
	v_pk_add_f32 v[138:139], v[138:139], v[146:147] neg_lo:[0,1] neg_hi:[0,1]
	v_add_f32_e32 v38, v95, v113
	v_mov_b32_e32 v153, v155
	v_mov_b32_e32 v150, v80
	;; [unrolled: 1-line block ×3, first 2 shown]
	v_pk_fma_f32 v[140:141], v[44:45], s[16:17], v[78:79] op_sel_hi:[1,0,1] neg_lo:[1,0,0] neg_hi:[1,0,0]
	v_mov_b32_e32 v44, v46
	v_mov_b32_e32 v45, v83
	;; [unrolled: 1-line block ×4, first 2 shown]
	v_pk_add_f32 v[120:121], v[152:153], v[150:151] neg_lo:[0,1] neg_hi:[0,1]
	v_pk_add_f32 v[42:43], v[82:83], v[38:39]
	v_pk_add_f32 v[44:45], v[44:45], v[142:143] neg_lo:[0,1] neg_hi:[0,1]
	global_store_dwordx2 v[134:135], v[78:79], off
	v_pk_add_f32 v[78:79], v[138:139], v[82:83]
	v_pk_mul_f32 v[120:121], v[120:121], s[10:11]
	v_pk_add_f32 v[122:123], v[80:81], v[154:155] neg_lo:[0,1] neg_hi:[0,1]
	v_mov_b32_e32 v47, v43
	v_pk_mul_f32 v[142:143], v[44:45], s[6:7]
	v_pk_add_f32 v[144:145], v[138:139], v[82:83] neg_lo:[0,1] neg_hi:[0,1]
	v_mov_b32_e32 v79, v139
	v_pk_fma_f32 v[42:43], v[122:123], s[12:13], v[120:121]
	v_pk_fma_f32 v[44:45], v[144:145], s[8:9], v[142:143]
	v_pk_add_f32 v[78:79], v[78:79], v[46:47]
	v_mov_b32_e32 v155, v151
	v_mov_b32_e32 v153, v81
	v_pk_mul_f32 v[122:123], v[122:123], s[12:13]
	v_pk_mul_f32 v[144:145], v[144:145], s[8:9]
	v_mov_b32_e32 v83, v36
	v_mov_b32_e32 v47, v139
	v_pk_add_f32 v[150:151], v[154:155], v[152:153] neg_lo:[0,1] neg_hi:[0,1]
	v_mov_b32_e32 v152, v120
	v_mov_b32_e32 v153, v123
	v_pk_add_f32 v[46:47], v[82:83], v[46:47] neg_lo:[0,1] neg_hi:[0,1]
	v_mov_b32_e32 v82, v142
	v_mov_b32_e32 v83, v145
	v_pk_fma_f32 v[44:45], v[78:79], s[0:1], v[44:45] op_sel_hi:[1,0,1]
	s_movk_i32 s1, 0x80a
	v_pk_fma_f32 v[152:153], v[150:151], s[14:15], v[152:153] op_sel_hi:[1,0,1] neg_lo:[1,0,1] neg_hi:[1,0,1]
	v_pk_fma_f32 v[82:83], v[46:47], s[4:5], v[82:83] op_sel_hi:[1,0,1] neg_lo:[1,0,1] neg_hi:[1,0,1]
	v_pk_add_f32 v[42:43], v[42:43], v[140:141]
	v_pk_add_f32 v[152:153], v[152:153], v[140:141]
	v_pk_fma_f32 v[82:83], v[78:79], s[0:1], v[82:83] op_sel_hi:[1,0,1]
	v_pk_add_f32 v[134:135], v[42:43], v[44:45] neg_lo:[0,1] neg_hi:[0,1]
	v_pk_add_f32 v[42:43], v[42:43], v[44:45]
	v_pk_add_f32 v[138:139], v[152:153], v[82:83] neg_lo:[0,1] neg_hi:[0,1]
	v_pk_add_f32 v[82:83], v[152:153], v[82:83]
	v_mul_f32_e32 v84, v20, v119
	v_mul_f32_e32 v114, v18, v98
	v_mov_b32_e32 v44, v42
	v_mov_b32_e32 v45, v135
	v_add_u32_e32 v39, 0x89d, v159
	v_mov_b32_e32 v152, v82
	v_mov_b32_e32 v153, v139
	v_fmac_f32_e32 v84, v69, v21
	v_fmac_f32_e32 v114, v60, v19
	global_store_dwordx2 v[136:137], v[44:45], off
	global_store_dwordx2 v[130:131], v[152:153], off
	v_mad_u64_u32 v[130:131], s[18:19], s2, v39, 0
	v_add_f32_e32 v37, v114, v84
	v_mov_b32_e32 v36, v131
	v_mov_b32_e32 v145, v143
	v_mad_u64_u32 v[152:153], s[18:19], s3, v39, v[36:37]
	v_pk_fma_f32 v[46:47], v[46:47], s[4:5], v[144:145] op_sel_hi:[1,0,1] neg_lo:[0,0,1] neg_hi:[0,0,1]
	v_mov_b32_e32 v123, v121
	v_add_u32_e32 v36, 0xc4, v159
	s_mov_b32 s5, 0xbf112a8b
	v_pk_fma_f32 v[46:47], v[78:79], s[0:1], v[46:47] op_sel_hi:[1,0,1]
	v_pk_fma_f32 v[78:79], v[150:151], s[14:15], v[122:123] op_sel_hi:[1,0,1] neg_lo:[0,0,1] neg_hi:[0,0,1]
	v_mul_hi_u32 v39, v36, s5
	v_pk_add_f32 v[78:79], v[78:79], v[140:141]
	v_lshrrev_b32_e32 v39, 8, v39
	v_add_u32_e32 v71, 0x746, v159
	v_pk_add_f32 v[120:121], v[78:79], v[46:47]
	v_pk_add_f32 v[46:47], v[78:79], v[46:47] neg_lo:[0,1] neg_hi:[0,1]
	v_mad_u32_u24 v39, v39, s1, v36
	v_mad_u64_u32 v[44:45], s[18:19], s2, v71, 0
	v_mov_b32_e32 v78, v46
	v_mov_b32_e32 v79, v121
	;; [unrolled: 1-line block ×3, first 2 shown]
	v_mad_u64_u32 v[46:47], s[18:19], s2, v39, 0
	v_mov_b32_e32 v40, v45
	v_mov_b32_e32 v36, v47
	v_mad_u64_u32 v[136:137], s[18:19], s3, v71, v[40:41]
	global_store_dwordx2 v[128:129], v[78:79], off
	v_mad_u64_u32 v[78:79], s[18:19], s3, v39, v[36:37]
	v_add_u32_e32 v40, 0x157, v39
	v_mov_b32_e32 v47, v78
	v_mad_u64_u32 v[78:79], s[18:19], s2, v40, 0
	v_mov_b32_e32 v36, v79
	v_mov_b32_e32 v139, v83
	v_mad_u64_u32 v[82:83], s[18:19], s3, v40, v[36:37]
	v_add_u32_e32 v40, 0x2ae, v39
	v_mov_b32_e32 v79, v82
	v_mad_u64_u32 v[82:83], s[18:19], s2, v40, 0
	v_mov_b32_e32 v36, v83
	global_store_dwordx2 v[148:149], v[120:121], off
	v_mad_u64_u32 v[120:121], s[18:19], s3, v40, v[36:37]
	v_add_u32_e32 v40, 0x405, v39
	v_mov_b32_e32 v83, v120
	v_mad_u64_u32 v[120:121], s[18:19], s2, v40, 0
	v_mov_b32_e32 v36, v121
	v_mov_b32_e32 v45, v136
	v_mad_u64_u32 v[122:123], s[18:19], s3, v40, v[36:37]
	v_add_u32_e32 v40, 0x55c, v39
	v_lshlrev_b64 v[44:45], 3, v[44:45]
	v_mov_b32_e32 v121, v122
	v_mad_u64_u32 v[122:123], s[18:19], s2, v40, 0
	v_add_co_u32_e32 v146, vcc, v132, v44
	v_mov_b32_e32 v131, v152
	v_mov_b32_e32 v36, v123
	v_addc_co_u32_e32 v147, vcc, v133, v45, vcc
	v_lshlrev_b64 v[130:131], 3, v[130:131]
	v_mad_u64_u32 v[128:129], s[18:19], s3, v40, v[36:37]
	v_add_u32_e32 v40, 0x6b3, v39
	v_add_co_u32_e32 v130, vcc, v132, v130
	v_mov_b32_e32 v123, v128
	v_mad_u64_u32 v[128:129], s[18:19], s2, v40, 0
	v_addc_co_u32_e32 v131, vcc, v133, v131, vcc
	v_mov_b32_e32 v135, v43
	v_mov_b32_e32 v36, v129
	global_store_dwordx2 v[146:147], v[138:139], off
	global_store_dwordx2 v[130:131], v[134:135], off
	v_mad_u64_u32 v[130:131], s[18:19], s3, v40, v[36:37]
	v_add_u32_e32 v39, 0x80a, v39
	v_mov_b32_e32 v129, v130
	v_mad_u64_u32 v[130:131], s[18:19], s2, v39, 0
	v_mov_b32_e32 v36, v131
	v_mad_u64_u32 v[134:135], s[18:19], s3, v39, v[36:37]
	s_waitcnt vmcnt(11)
	v_mov_b32_e32 v140, v33
	v_mov_b32_e32 v141, v24
	;; [unrolled: 1-line block ×4, first 2 shown]
	v_mul_f32_e32 v76, v32, v118
	v_mov_b32_e32 v131, v134
	v_mov_b32_e32 v134, v68
	;; [unrolled: 1-line block ×5, first 2 shown]
	v_pk_mul_f32 v[140:141], v[140:141], v[142:143]
	v_mul_f32_e32 v53, v35, v125
	v_fmac_f32_e32 v76, v68, v33
	v_pk_fma_f32 v[32:33], v[68:69], v[32:33], v[140:141] neg_lo:[0,0,1] neg_hi:[0,0,1]
	v_pk_fma_f32 v[134:135], v[134:135], v[138:139], v[140:141]
	v_mov_b32_e32 v140, v31
	v_mov_b32_e32 v141, v26
	v_mov_b32_e32 v110, v127
	v_mov_b32_e32 v142, v25
	v_mov_b32_e32 v143, v34
	v_mov_b32_e32 v124, v116
	v_fma_f32 v137, v75, v34, -v53
	v_mul_f32_e32 v80, v30, v127
	v_pk_mul_f32 v[126:127], v[140:141], v[110:111]
	v_mov_b32_e32 v74, v66
	v_mov_b32_e32 v140, v24
	;; [unrolled: 1-line block ×3, first 2 shown]
	v_pk_mul_f32 v[34:35], v[142:143], v[124:125]
	v_mov_b32_e32 v36, v77
	v_mov_b32_e32 v72, v77
	;; [unrolled: 1-line block ×4, first 2 shown]
	v_pk_fma_f32 v[24:25], v[66:67], v[24:25], v[34:35] neg_lo:[0,0,1] neg_hi:[0,0,1]
	v_pk_fma_f32 v[34:35], v[74:75], v[140:141], v[34:35]
	v_mov_b32_e32 v74, v26
	v_mov_b32_e32 v75, v29
	;; [unrolled: 1-line block ×6, first 2 shown]
	v_fmac_f32_e32 v80, v77, v31
	v_pk_fma_f32 v[30:31], v[36:37], v[30:31], v[126:127] neg_lo:[0,0,1] neg_hi:[0,0,1]
	v_pk_fma_f32 v[126:127], v[72:73], v[138:139], v[126:127]
	v_mov_b32_e32 v72, v73
	v_mov_b32_e32 v73, v64
	v_pk_mul_f32 v[26:27], v[26:27], v[28:29]
	v_mov_b32_e32 v33, v135
	v_mov_b32_e32 v31, v127
	v_pk_fma_f32 v[28:29], v[72:73], v[74:75], v[26:27] neg_lo:[0,0,1] neg_hi:[0,0,1]
	v_pk_fma_f32 v[26:27], v[72:73], v[74:75], v[26:27]
	v_pk_add_f32 v[138:139], v[30:31], v[32:33] neg_lo:[0,1] neg_hi:[0,1]
	v_mov_b32_e32 v25, v35
	v_mov_b32_e32 v29, v27
	;; [unrolled: 1-line block ×4, first 2 shown]
	ds_read_b32 v71, v51
	v_pk_add_f32 v[72:73], v[28:29], v[24:25]
	v_mov_b32_e32 v28, v35
	v_mov_b32_e32 v29, v24
	v_pk_add_f32 v[24:25], v[80:81], v[76:77] neg_lo:[0,1] neg_hi:[0,1]
	v_mov_b32_e32 v26, v27
	v_mov_b32_e32 v27, v138
	v_pk_add_f32 v[28:29], v[26:27], v[28:29] neg_lo:[0,1] neg_hi:[0,1]
	v_pk_add_f32 v[26:27], v[24:25], v[26:27]
	v_mov_b32_e32 v40, v127
	v_mov_b32_e32 v136, v135
	v_add_f32_e32 v45, v80, v76
	v_add_f32_e32 v42, v41, v137
	v_pk_add_f32 v[30:31], v[30:31], v[32:33]
	v_mov_b32_e32 v29, v27
	v_pk_add_f32 v[26:27], v[40:41], v[136:137] neg_lo:[0,1] neg_hi:[0,1]
	v_add_f32_e32 v75, v73, v45
	v_mov_b32_e32 v43, v31
	v_mov_b32_e32 v44, v72
	v_add_f32_e32 v140, v42, v30
	v_mov_b32_e32 v141, v31
	v_mov_b32_e32 v74, v72
	;; [unrolled: 1-line block ×6, first 2 shown]
	v_pk_add_f32 v[32:33], v[42:43], v[44:45] neg_lo:[0,1] neg_hi:[0,1]
	v_pk_add_f32 v[74:75], v[140:141], v[74:75]
	v_pk_add_f32 v[34:35], v[34:35], v[40:41] neg_lo:[0,1] neg_hi:[0,1]
	v_pk_add_f32 v[80:81], v[26:27], v[24:25]
	v_lshlrev_b64 v[46:47], 3, v[46:47]
	v_pk_mul_f32 v[32:33], v[32:33], s[10:11]
	v_pk_add_f32 v[110:111], v[72:73], v[30:31] neg_lo:[0,1] neg_hi:[0,1]
	s_waitcnt lgkmcnt(0)
	v_pk_add_f32 v[70:71], v[70:71], v[74:75]
	v_pk_mul_f32 v[34:35], v[34:35], s[6:7]
	v_pk_add_f32 v[40:41], v[26:27], v[24:25] neg_lo:[0,1] neg_hi:[0,1]
	v_mov_b32_e32 v81, v27
	v_add_co_u32_e32 v46, vcc, v132, v46
	v_pk_mul_f32 v[124:125], v[110:111], s[12:13]
	v_pk_fma_f32 v[110:111], v[110:111], s[12:13], v[32:33]
	v_pk_fma_f32 v[74:75], v[74:75], s[16:17], v[70:71] op_sel_hi:[1,0,1] neg_lo:[1,0,0] neg_hi:[1,0,0]
	v_pk_mul_f32 v[76:77], v[40:41], s[8:9]
	v_pk_fma_f32 v[40:41], v[40:41], s[8:9], v[34:35]
	v_pk_add_f32 v[80:81], v[80:81], v[28:29]
	v_addc_co_u32_e32 v47, vcc, v133, v47, vcc
	v_lshlrev_b64 v[78:79], 3, v[78:79]
	v_pk_add_f32 v[110:111], v[110:111], v[74:75]
	v_pk_fma_f32 v[40:41], v[80:81], s[0:1], v[40:41] op_sel_hi:[1,0,1]
	v_add_co_u32_e32 v78, vcc, v132, v78
	v_pk_add_f32 v[126:127], v[110:111], v[40:41] neg_lo:[0,1] neg_hi:[0,1]
	v_pk_add_f32 v[40:41], v[110:111], v[40:41]
	v_addc_co_u32_e32 v79, vcc, v133, v79, vcc
	global_store_dwordx2 v[46:47], v[70:71], off
	v_mov_b32_e32 v46, v40
	v_mov_b32_e32 v47, v127
	;; [unrolled: 1-line block ×6, first 2 shown]
	global_store_dwordx2 v[78:79], v[46:47], off
	v_mov_b32_e32 v46, v32
	v_mov_b32_e32 v47, v125
	v_pk_add_f32 v[30:31], v[30:31], v[42:43] neg_lo:[0,1] neg_hi:[0,1]
	v_pk_add_f32 v[24:25], v[24:25], v[28:29] neg_lo:[0,1] neg_hi:[0,1]
	v_mov_b32_e32 v26, v34
	v_mov_b32_e32 v27, v77
	;; [unrolled: 1-line block ×4, first 2 shown]
	v_lshlrev_b64 v[82:83], 3, v[82:83]
	v_pk_fma_f32 v[42:43], v[30:31], s[14:15], v[46:47] op_sel_hi:[1,0,1] neg_lo:[1,0,1] neg_hi:[1,0,1]
	v_pk_fma_f32 v[26:27], v[24:25], s[4:5], v[26:27] op_sel_hi:[1,0,1] neg_lo:[1,0,1] neg_hi:[1,0,1]
	v_pk_fma_f32 v[24:25], v[24:25], s[4:5], v[76:77] op_sel_hi:[1,0,1] neg_lo:[0,0,1] neg_hi:[0,0,1]
	v_pk_fma_f32 v[30:31], v[30:31], s[14:15], v[124:125] op_sel_hi:[1,0,1] neg_lo:[0,0,1] neg_hi:[0,0,1]
	v_add_co_u32_e32 v82, vcc, v132, v82
	v_pk_fma_f32 v[24:25], v[80:81], s[0:1], v[24:25] op_sel_hi:[1,0,1]
	v_pk_add_f32 v[30:31], v[30:31], v[74:75]
	v_addc_co_u32_e32 v83, vcc, v133, v83, vcc
	v_lshlrev_b64 v[120:121], 3, v[120:121]
	v_pk_add_f32 v[32:33], v[30:31], v[24:25]
	v_pk_add_f32 v[24:25], v[30:31], v[24:25] neg_lo:[0,1] neg_hi:[0,1]
	v_add_co_u32_e32 v120, vcc, v132, v120
	v_mov_b32_e32 v30, v24
	v_add_u32_e32 v24, 0xf5, v159
	v_addc_co_u32_e32 v121, vcc, v133, v121, vcc
	v_lshlrev_b64 v[122:123], 3, v[122:123]
	v_mov_b32_e32 v31, v33
	v_mov_b32_e32 v33, v25
	v_mul_hi_u32 v25, v24, s5
	v_add_co_u32_e32 v122, vcc, v132, v122
	v_lshrrev_b32_e32 v25, 8, v25
	v_addc_co_u32_e32 v123, vcc, v133, v123, vcc
	v_lshlrev_b64 v[128:129], 3, v[128:129]
	v_pk_add_f32 v[42:43], v[42:43], v[74:75]
	v_pk_fma_f32 v[26:27], v[80:81], s[0:1], v[26:27] op_sel_hi:[1,0,1]
	v_mad_u32_u24 v39, v25, s1, v24
	v_add_co_u32_e32 v128, vcc, v132, v128
	v_pk_add_f32 v[28:29], v[42:43], v[26:27] neg_lo:[0,1] neg_hi:[0,1]
	v_pk_add_f32 v[26:27], v[42:43], v[26:27]
	v_mad_u64_u32 v[24:25], s[18:19], s2, v39, 0
	v_addc_co_u32_e32 v129, vcc, v133, v129, vcc
	v_mov_b32_e32 v42, v26
	v_mov_b32_e32 v43, v29
	;; [unrolled: 1-line block ×4, first 2 shown]
	global_store_dwordx2 v[82:83], v[42:43], off
	global_store_dwordx2 v[120:121], v[30:31], off
	;; [unrolled: 1-line block ×4, first 2 shown]
	v_mad_u64_u32 v[26:27], s[18:19], s3, v39, v[26:27]
	v_add_u32_e32 v29, 0x157, v39
	v_mov_b32_e32 v25, v26
	v_mad_u64_u32 v[26:27], s[18:19], s2, v29, 0
	v_mov_b32_e32 v28, v27
	v_mad_u64_u32 v[28:29], s[18:19], s3, v29, v[28:29]
	v_add_u32_e32 v31, 0x2ae, v39
	v_mov_b32_e32 v27, v28
	v_mad_u64_u32 v[28:29], s[18:19], s2, v31, 0
	v_mov_b32_e32 v30, v29
	;; [unrolled: 5-line block ×5, first 2 shown]
	v_mov_b32_e32 v127, v41
	v_mad_u64_u32 v[40:41], s[18:19], s3, v40, v[36:37]
	v_add_u32_e32 v39, 0x80a, v39
	v_mov_b32_e32 v35, v40
	v_mad_u64_u32 v[40:41], s[18:19], s2, v39, 0
	v_mov_b32_e32 v36, v41
	v_mad_u64_u32 v[42:43], s[18:19], s3, v39, v[36:37]
	v_mov_b32_e32 v44, v21
	v_mov_b32_e32 v45, v12
	;; [unrolled: 1-line block ×8, first 2 shown]
	v_pk_mul_f32 v[44:45], v[44:45], v[116:117]
	v_mov_b32_e32 v68, v19
	v_mov_b32_e32 v69, v14
	;; [unrolled: 1-line block ×4, first 2 shown]
	v_pk_fma_f32 v[20:21], v[36:37], v[20:21], v[44:45] neg_lo:[0,0,1] neg_hi:[0,0,1]
	v_pk_fma_f32 v[42:43], v[66:67], v[42:43], v[44:45]
	v_mov_b32_e32 v44, v60
	v_mov_b32_e32 v45, v56
	;; [unrolled: 1-line block ×4, first 2 shown]
	v_pk_mul_f32 v[68:69], v[68:69], v[70:71]
	v_pk_fma_f32 v[18:19], v[60:61], v[18:19], v[68:69] neg_lo:[0,0,1] neg_hi:[0,0,1]
	v_pk_fma_f32 v[44:45], v[44:45], v[46:47], v[68:69]
	v_mov_b32_e32 v69, v23
	v_mov_b32_e32 v70, v13
	;; [unrolled: 1-line block ×9, first 2 shown]
	v_pk_mul_f32 v[22:23], v[70:71], v[22:23]
	v_pk_fma_f32 v[12:13], v[36:37], v[12:13], v[22:23] neg_lo:[0,0,1] neg_hi:[0,0,1]
	v_pk_fma_f32 v[22:23], v[66:67], v[68:69], v[22:23]
	v_mov_b32_e32 v66, v14
	v_mov_b32_e32 v14, v15
	;; [unrolled: 1-line block ×6, first 2 shown]
	v_pk_mul_f32 v[14:15], v[14:15], v[108:109]
	v_mov_b32_e32 v21, v43
	v_mov_b32_e32 v19, v45
	v_pk_fma_f32 v[16:17], v[64:65], v[66:67], v[14:15] neg_lo:[0,0,1] neg_hi:[0,0,1]
	v_pk_fma_f32 v[14:15], v[64:65], v[66:67], v[14:15]
	v_pk_add_f32 v[46:47], v[18:19], v[20:21] neg_lo:[0,1] neg_hi:[0,1]
	v_mov_b32_e32 v13, v23
	v_mov_b32_e32 v17, v15
	;; [unrolled: 1-line block ×4, first 2 shown]
	v_pk_add_f32 v[64:65], v[16:17], v[12:13]
	v_mov_b32_e32 v16, v23
	v_mov_b32_e32 v17, v12
	v_pk_add_f32 v[12:13], v[114:115], v[84:85] neg_lo:[0,1] neg_hi:[0,1]
	v_mov_b32_e32 v14, v15
	v_mov_b32_e32 v15, v46
	v_pk_add_f32 v[16:17], v[14:15], v[16:17] neg_lo:[0,1] neg_hi:[0,1]
	v_pk_add_f32 v[14:15], v[12:13], v[14:15]
	v_mov_b32_e32 v94, v45
	v_mov_b32_e32 v112, v43
	v_pk_add_f32 v[18:19], v[18:19], v[20:21]
	v_mov_b32_e32 v17, v15
	v_pk_add_f32 v[14:15], v[94:95], v[112:113] neg_lo:[0,1] neg_hi:[0,1]
	v_lshlrev_b64 v[130:131], 3, v[130:131]
	v_add_f32_e32 v67, v65, v37
	v_mov_b32_e32 v39, v19
	v_mov_b32_e32 v36, v64
	v_add_f32_e32 v72, v38, v18
	v_mov_b32_e32 v73, v19
	v_mov_b32_e32 v66, v64
	;; [unrolled: 1-line block ×6, first 2 shown]
	v_add_co_u32_e32 v130, vcc, v132, v130
	v_pk_add_f32 v[20:21], v[38:39], v[36:37] neg_lo:[0,1] neg_hi:[0,1]
	v_pk_add_f32 v[66:67], v[72:73], v[66:67]
	v_pk_add_f32 v[22:23], v[22:23], v[42:43] neg_lo:[0,1] neg_hi:[0,1]
	v_pk_add_f32 v[72:73], v[14:15], v[12:13]
	v_addc_co_u32_e32 v131, vcc, v133, v131, vcc
	v_lshlrev_b64 v[24:25], 3, v[24:25]
	v_pk_mul_f32 v[20:21], v[20:21], s[10:11]
	v_pk_add_f32 v[68:69], v[64:65], v[18:19] neg_lo:[0,1] neg_hi:[0,1]
	v_pk_add_f32 v[62:63], v[62:63], v[66:67]
	v_pk_mul_f32 v[22:23], v[22:23], s[6:7]
	v_pk_add_f32 v[42:43], v[14:15], v[12:13] neg_lo:[0,1] neg_hi:[0,1]
	v_mov_b32_e32 v73, v15
	v_add_co_u32_e32 v24, vcc, v132, v24
	v_pk_mul_f32 v[70:71], v[68:69], s[12:13]
	v_pk_fma_f32 v[68:69], v[68:69], s[12:13], v[20:21]
	v_pk_fma_f32 v[66:67], v[66:67], s[16:17], v[62:63] op_sel_hi:[1,0,1] neg_lo:[1,0,0] neg_hi:[1,0,0]
	v_pk_mul_f32 v[44:45], v[42:43], s[8:9]
	v_pk_fma_f32 v[42:43], v[42:43], s[8:9], v[22:23]
	v_pk_add_f32 v[72:73], v[72:73], v[16:17]
	v_addc_co_u32_e32 v25, vcc, v133, v25, vcc
	v_lshlrev_b64 v[26:27], 3, v[26:27]
	v_pk_add_f32 v[68:69], v[68:69], v[66:67]
	v_pk_fma_f32 v[42:43], v[72:73], s[0:1], v[42:43] op_sel_hi:[1,0,1]
	v_add_co_u32_e32 v26, vcc, v132, v26
	v_pk_add_f32 v[74:75], v[68:69], v[42:43] neg_lo:[0,1] neg_hi:[0,1]
	v_pk_add_f32 v[42:43], v[68:69], v[42:43]
	global_store_dwordx2 v[130:131], v[126:127], off
	v_addc_co_u32_e32 v27, vcc, v133, v27, vcc
	global_store_dwordx2 v[24:25], v[62:63], off
	v_mov_b32_e32 v24, v42
	v_mov_b32_e32 v25, v75
	;; [unrolled: 1-line block ×6, first 2 shown]
	global_store_dwordx2 v[26:27], v[24:25], off
	v_mov_b32_e32 v24, v20
	v_mov_b32_e32 v25, v71
	v_pk_add_f32 v[18:19], v[18:19], v[38:39] neg_lo:[0,1] neg_hi:[0,1]
	v_pk_add_f32 v[12:13], v[12:13], v[16:17] neg_lo:[0,1] neg_hi:[0,1]
	v_mov_b32_e32 v14, v22
	v_mov_b32_e32 v15, v45
	;; [unrolled: 1-line block ×4, first 2 shown]
	v_lshlrev_b64 v[28:29], 3, v[28:29]
	v_pk_fma_f32 v[24:25], v[18:19], s[14:15], v[24:25] op_sel_hi:[1,0,1] neg_lo:[1,0,1] neg_hi:[1,0,1]
	v_pk_fma_f32 v[14:15], v[12:13], s[4:5], v[14:15] op_sel_hi:[1,0,1] neg_lo:[1,0,1] neg_hi:[1,0,1]
	;; [unrolled: 1-line block ×4, first 2 shown]
	v_add_co_u32_e32 v28, vcc, v132, v28
	v_pk_fma_f32 v[12:13], v[72:73], s[0:1], v[12:13] op_sel_hi:[1,0,1]
	v_pk_add_f32 v[18:19], v[18:19], v[66:67]
	v_addc_co_u32_e32 v29, vcc, v133, v29, vcc
	v_lshlrev_b64 v[30:31], 3, v[30:31]
	v_pk_add_f32 v[20:21], v[18:19], v[12:13]
	v_pk_add_f32 v[12:13], v[18:19], v[12:13] neg_lo:[0,1] neg_hi:[0,1]
	v_add_co_u32_e32 v30, vcc, v132, v30
	v_mov_b32_e32 v18, v12
	v_add_u32_e32 v12, 0x126, v159
	v_addc_co_u32_e32 v31, vcc, v133, v31, vcc
	v_lshlrev_b64 v[32:33], 3, v[32:33]
	v_mov_b32_e32 v19, v21
	v_mov_b32_e32 v21, v13
	v_mul_hi_u32 v13, v12, s5
	v_add_co_u32_e32 v32, vcc, v132, v32
	v_lshrrev_b32_e32 v13, 8, v13
	v_addc_co_u32_e32 v33, vcc, v133, v33, vcc
	v_lshlrev_b64 v[34:35], 3, v[34:35]
	v_pk_add_f32 v[24:25], v[24:25], v[66:67]
	v_pk_fma_f32 v[14:15], v[72:73], s[0:1], v[14:15] op_sel_hi:[1,0,1]
	v_mad_u32_u24 v26, v13, s1, v12
	v_add_co_u32_e32 v34, vcc, v132, v34
	v_pk_add_f32 v[16:17], v[24:25], v[14:15] neg_lo:[0,1] neg_hi:[0,1]
	v_pk_add_f32 v[14:15], v[24:25], v[14:15]
	v_mad_u64_u32 v[12:13], s[18:19], s2, v26, 0
	v_addc_co_u32_e32 v35, vcc, v133, v35, vcc
	v_mov_b32_e32 v24, v14
	v_mov_b32_e32 v25, v17
	;; [unrolled: 1-line block ×4, first 2 shown]
	global_store_dwordx2 v[28:29], v[24:25], off
	global_store_dwordx2 v[30:31], v[18:19], off
	;; [unrolled: 1-line block ×4, first 2 shown]
	v_mad_u64_u32 v[14:15], s[18:19], s3, v26, v[14:15]
	v_add_u32_e32 v17, 0x157, v26
	v_mov_b32_e32 v13, v14
	v_mad_u64_u32 v[14:15], s[18:19], s2, v17, 0
	v_mov_b32_e32 v16, v15
	v_mad_u64_u32 v[16:17], s[18:19], s3, v17, v[16:17]
	v_add_u32_e32 v19, 0x2ae, v26
	v_mov_b32_e32 v15, v16
	v_mad_u64_u32 v[16:17], s[18:19], s2, v19, 0
	v_mov_b32_e32 v18, v17
	;; [unrolled: 5-line block ×6, first 2 shown]
	v_mad_u64_u32 v[26:27], s[2:3], s3, v27, v[26:27]
	v_mov_b32_e32 v28, v9
	v_mov_b32_e32 v29, v4
	;; [unrolled: 1-line block ×7, first 2 shown]
	v_pk_mul_f32 v[28:29], v[28:29], v[92:93]
	v_mul_f32_e32 v104, v8, v92
	v_pk_fma_f32 v[26:27], v[52:53], v[26:27], v[28:29]
	v_mov_b32_e32 v30, v3
	v_mov_b32_e32 v31, v6
	v_mov_b32_e32 v96, v99
	v_mov_b32_e32 v34, v5
	v_mov_b32_e32 v35, v10
	v_mov_b32_e32 v89, v91
	v_fmac_f32_e32 v104, v52, v9
	v_mul_f32_e32 v106, v2, v99
	v_pk_fma_f32 v[8:9], v[52:53], v[8:9], v[28:29] neg_lo:[0,0,1] neg_hi:[0,0,1]
	v_mov_b32_e32 v26, v61
	v_mov_b32_e32 v56, v61
	;; [unrolled: 1-line block ×4, first 2 shown]
	v_pk_mul_f32 v[30:31], v[30:31], v[96:97]
	v_mov_b32_e32 v51, v59
	v_mov_b32_e32 v32, v4
	v_mov_b32_e32 v33, v11
	v_pk_mul_f32 v[10:11], v[34:35], v[88:89]
	v_mov_b32_e32 v34, v6
	v_mov_b32_e32 v35, v1
	;; [unrolled: 1-line block ×6, first 2 shown]
	v_fmac_f32_e32 v106, v61, v3
	v_pk_fma_f32 v[2:3], v[26:27], v[2:3], v[30:31] neg_lo:[0,0,1] neg_hi:[0,0,1]
	v_pk_fma_f32 v[28:29], v[56:57], v[28:29], v[30:31]
	v_pk_fma_f32 v[4:5], v[50:51], v[4:5], v[10:11] neg_lo:[0,0,1] neg_hi:[0,0,1]
	v_pk_fma_f32 v[10:11], v[50:51], v[32:33], v[10:11]
	v_mov_b32_e32 v32, v57
	v_mov_b32_e32 v33, v48
	v_pk_mul_f32 v[0:1], v[6:7], v[0:1]
	v_lshlrev_b64 v[40:41], 3, v[40:41]
	v_mov_b32_e32 v9, v27
	v_mov_b32_e32 v3, v29
	v_pk_fma_f32 v[6:7], v[32:33], v[34:35], v[0:1] neg_lo:[0,0,1] neg_hi:[0,0,1]
	v_pk_fma_f32 v[0:1], v[32:33], v[34:35], v[0:1]
	v_add_co_u32_e32 v40, vcc, v132, v40
	v_pk_add_f32 v[30:31], v[2:3], v[8:9] neg_lo:[0,1] neg_hi:[0,1]
	v_mov_b32_e32 v5, v11
	v_mov_b32_e32 v7, v1
	;; [unrolled: 1-line block ×4, first 2 shown]
	v_addc_co_u32_e32 v41, vcc, v133, v41, vcc
	v_lshlrev_b64 v[12:13], 3, v[12:13]
	v_pk_add_f32 v[32:33], v[6:7], v[4:5]
	v_mov_b32_e32 v6, v11
	v_mov_b32_e32 v7, v4
	v_pk_add_f32 v[4:5], v[106:107], v[104:105] neg_lo:[0,1] neg_hi:[0,1]
	v_mov_b32_e32 v0, v1
	v_mov_b32_e32 v1, v30
	v_add_co_u32_e32 v12, vcc, v132, v12
	v_pk_add_f32 v[6:7], v[0:1], v[6:7] neg_lo:[0,1] neg_hi:[0,1]
	v_pk_add_f32 v[0:1], v[4:5], v[0:1]
	v_mov_b32_e32 v48, v29
	v_mov_b32_e32 v86, v27
	v_add_f32_e32 v103, v106, v104
	v_add_f32_e32 v100, v49, v87
	v_mov_b32_e32 v75, v43
	v_addc_co_u32_e32 v13, vcc, v133, v13, vcc
	v_lshlrev_b64 v[14:15], 3, v[14:15]
	v_pk_add_f32 v[2:3], v[2:3], v[8:9]
	v_mov_b32_e32 v7, v1
	v_pk_add_f32 v[0:1], v[48:49], v[86:87] neg_lo:[0,1] neg_hi:[0,1]
	global_store_dwordx2 v[40:41], v[74:75], off
	v_add_co_u32_e32 v14, vcc, v132, v14
	v_add_f32_e32 v35, v33, v103
	v_mov_b32_e32 v101, v3
	v_mov_b32_e32 v102, v32
	v_add_f32_e32 v40, v100, v2
	v_mov_b32_e32 v41, v3
	v_mov_b32_e32 v34, v32
	;; [unrolled: 1-line block ×6, first 2 shown]
	v_addc_co_u32_e32 v15, vcc, v133, v15, vcc
	v_lshlrev_b64 v[16:17], 3, v[16:17]
	v_pk_add_f32 v[8:9], v[100:101], v[102:103] neg_lo:[0,1] neg_hi:[0,1]
	v_pk_add_f32 v[34:35], v[40:41], v[34:35]
	v_pk_add_f32 v[10:11], v[10:11], v[26:27] neg_lo:[0,1] neg_hi:[0,1]
	v_pk_add_f32 v[42:43], v[0:1], v[4:5]
	v_add_co_u32_e32 v16, vcc, v132, v16
	v_pk_mul_f32 v[8:9], v[8:9], s[10:11]
	v_pk_add_f32 v[36:37], v[32:33], v[2:3] neg_lo:[0,1] neg_hi:[0,1]
	v_pk_add_f32 v[40:41], v[54:55], v[34:35]
	v_pk_mul_f32 v[10:11], v[10:11], s[6:7]
	v_pk_add_f32 v[26:27], v[0:1], v[4:5] neg_lo:[0,1] neg_hi:[0,1]
	v_mov_b32_e32 v43, v1
	v_addc_co_u32_e32 v17, vcc, v133, v17, vcc
	v_lshlrev_b64 v[18:19], 3, v[18:19]
	v_pk_mul_f32 v[38:39], v[36:37], s[12:13]
	v_pk_fma_f32 v[36:37], v[36:37], s[12:13], v[8:9]
	v_pk_fma_f32 v[34:35], v[34:35], s[16:17], v[40:41] op_sel_hi:[1,0,1] neg_lo:[1,0,0] neg_hi:[1,0,0]
	v_pk_mul_f32 v[28:29], v[26:27], s[8:9]
	v_pk_fma_f32 v[26:27], v[26:27], s[8:9], v[10:11]
	v_pk_add_f32 v[42:43], v[42:43], v[6:7]
	v_add_co_u32_e32 v18, vcc, v132, v18
	v_pk_add_f32 v[36:37], v[36:37], v[34:35]
	v_pk_fma_f32 v[26:27], v[42:43], s[0:1], v[26:27] op_sel_hi:[1,0,1]
	v_addc_co_u32_e32 v19, vcc, v133, v19, vcc
	v_lshlrev_b64 v[20:21], 3, v[20:21]
	v_pk_add_f32 v[44:45], v[36:37], v[26:27] neg_lo:[0,1] neg_hi:[0,1]
	v_pk_add_f32 v[26:27], v[36:37], v[26:27]
	v_add_co_u32_e32 v20, vcc, v132, v20
	global_store_dwordx2 v[12:13], v[40:41], off
	v_mov_b32_e32 v12, v26
	v_mov_b32_e32 v13, v45
	;; [unrolled: 1-line block ×6, first 2 shown]
	v_addc_co_u32_e32 v21, vcc, v133, v21, vcc
	v_lshlrev_b64 v[22:23], 3, v[22:23]
	global_store_dwordx2 v[14:15], v[12:13], off
	v_mov_b32_e32 v12, v8
	v_mov_b32_e32 v13, v39
	v_pk_add_f32 v[2:3], v[2:3], v[100:101] neg_lo:[0,1] neg_hi:[0,1]
	v_pk_add_f32 v[0:1], v[4:5], v[6:7] neg_lo:[0,1] neg_hi:[0,1]
	v_mov_b32_e32 v4, v10
	v_mov_b32_e32 v5, v29
	;; [unrolled: 1-line block ×4, first 2 shown]
	v_add_co_u32_e32 v22, vcc, v132, v22
	v_pk_fma_f32 v[12:13], v[2:3], s[14:15], v[12:13] op_sel_hi:[1,0,1] neg_lo:[1,0,1] neg_hi:[1,0,1]
	v_pk_fma_f32 v[4:5], v[0:1], s[4:5], v[4:5] op_sel_hi:[1,0,1] neg_lo:[1,0,1] neg_hi:[1,0,1]
	v_pk_fma_f32 v[0:1], v[0:1], s[4:5], v[28:29] op_sel_hi:[1,0,1] neg_lo:[0,0,1] neg_hi:[0,0,1]
	v_pk_fma_f32 v[2:3], v[2:3], s[14:15], v[38:39] op_sel_hi:[1,0,1] neg_lo:[0,0,1] neg_hi:[0,0,1]
	v_addc_co_u32_e32 v23, vcc, v133, v23, vcc
	v_lshlrev_b64 v[24:25], 3, v[24:25]
	v_pk_add_f32 v[12:13], v[12:13], v[34:35]
	v_pk_fma_f32 v[4:5], v[42:43], s[0:1], v[4:5] op_sel_hi:[1,0,1]
	v_pk_fma_f32 v[0:1], v[42:43], s[0:1], v[0:1] op_sel_hi:[1,0,1]
	v_pk_add_f32 v[2:3], v[2:3], v[34:35]
	v_add_co_u32_e32 v24, vcc, v132, v24
	v_pk_add_f32 v[6:7], v[12:13], v[4:5] neg_lo:[0,1] neg_hi:[0,1]
	v_pk_add_f32 v[4:5], v[12:13], v[4:5]
	v_pk_add_f32 v[8:9], v[2:3], v[0:1]
	v_pk_add_f32 v[0:1], v[2:3], v[0:1] neg_lo:[0,1] neg_hi:[0,1]
	v_addc_co_u32_e32 v25, vcc, v133, v25, vcc
	v_mov_b32_e32 v12, v4
	v_mov_b32_e32 v13, v7
	v_mov_b32_e32 v2, v0
	v_mov_b32_e32 v3, v9
	v_mov_b32_e32 v9, v1
	v_mov_b32_e32 v7, v5
	v_mov_b32_e32 v45, v27
	global_store_dwordx2 v[16:17], v[12:13], off
	global_store_dwordx2 v[18:19], v[2:3], off
	;; [unrolled: 1-line block ×5, first 2 shown]
.LBB0_15:
	s_endpgm
	.section	.rodata,"a",@progbits
	.p2align	6, 0x0
	.amdhsa_kernel fft_rtc_fwd_len2401_factors_7_7_7_7_wgs_49_tpt_49_halfLds_sp_ip_CI_sbrr_dirReg
		.amdhsa_group_segment_fixed_size 0
		.amdhsa_private_segment_fixed_size 0
		.amdhsa_kernarg_size 88
		.amdhsa_user_sgpr_count 6
		.amdhsa_user_sgpr_private_segment_buffer 1
		.amdhsa_user_sgpr_dispatch_ptr 0
		.amdhsa_user_sgpr_queue_ptr 0
		.amdhsa_user_sgpr_kernarg_segment_ptr 1
		.amdhsa_user_sgpr_dispatch_id 0
		.amdhsa_user_sgpr_flat_scratch_init 0
		.amdhsa_user_sgpr_kernarg_preload_length 0
		.amdhsa_user_sgpr_kernarg_preload_offset 0
		.amdhsa_user_sgpr_private_segment_size 0
		.amdhsa_uses_dynamic_stack 0
		.amdhsa_system_sgpr_private_segment_wavefront_offset 0
		.amdhsa_system_sgpr_workgroup_id_x 1
		.amdhsa_system_sgpr_workgroup_id_y 0
		.amdhsa_system_sgpr_workgroup_id_z 0
		.amdhsa_system_sgpr_workgroup_info 0
		.amdhsa_system_vgpr_workitem_id 0
		.amdhsa_next_free_vgpr 188
		.amdhsa_next_free_sgpr 24
		.amdhsa_accum_offset 188
		.amdhsa_reserve_vcc 1
		.amdhsa_reserve_flat_scratch 0
		.amdhsa_float_round_mode_32 0
		.amdhsa_float_round_mode_16_64 0
		.amdhsa_float_denorm_mode_32 3
		.amdhsa_float_denorm_mode_16_64 3
		.amdhsa_dx10_clamp 1
		.amdhsa_ieee_mode 1
		.amdhsa_fp16_overflow 0
		.amdhsa_tg_split 0
		.amdhsa_exception_fp_ieee_invalid_op 0
		.amdhsa_exception_fp_denorm_src 0
		.amdhsa_exception_fp_ieee_div_zero 0
		.amdhsa_exception_fp_ieee_overflow 0
		.amdhsa_exception_fp_ieee_underflow 0
		.amdhsa_exception_fp_ieee_inexact 0
		.amdhsa_exception_int_div_zero 0
	.end_amdhsa_kernel
	.text
.Lfunc_end0:
	.size	fft_rtc_fwd_len2401_factors_7_7_7_7_wgs_49_tpt_49_halfLds_sp_ip_CI_sbrr_dirReg, .Lfunc_end0-fft_rtc_fwd_len2401_factors_7_7_7_7_wgs_49_tpt_49_halfLds_sp_ip_CI_sbrr_dirReg
                                        ; -- End function
	.section	.AMDGPU.csdata,"",@progbits
; Kernel info:
; codeLenInByte = 28972
; NumSgprs: 28
; NumVgprs: 188
; NumAgprs: 0
; TotalNumVgprs: 188
; ScratchSize: 0
; MemoryBound: 0
; FloatMode: 240
; IeeeMode: 1
; LDSByteSize: 0 bytes/workgroup (compile time only)
; SGPRBlocks: 3
; VGPRBlocks: 23
; NumSGPRsForWavesPerEU: 28
; NumVGPRsForWavesPerEU: 188
; AccumOffset: 188
; Occupancy: 2
; WaveLimiterHint : 1
; COMPUTE_PGM_RSRC2:SCRATCH_EN: 0
; COMPUTE_PGM_RSRC2:USER_SGPR: 6
; COMPUTE_PGM_RSRC2:TRAP_HANDLER: 0
; COMPUTE_PGM_RSRC2:TGID_X_EN: 1
; COMPUTE_PGM_RSRC2:TGID_Y_EN: 0
; COMPUTE_PGM_RSRC2:TGID_Z_EN: 0
; COMPUTE_PGM_RSRC2:TIDIG_COMP_CNT: 0
; COMPUTE_PGM_RSRC3_GFX90A:ACCUM_OFFSET: 46
; COMPUTE_PGM_RSRC3_GFX90A:TG_SPLIT: 0
	.text
	.p2alignl 6, 3212836864
	.fill 256, 4, 3212836864
	.type	__hip_cuid_b55c7588571b2ad9,@object ; @__hip_cuid_b55c7588571b2ad9
	.section	.bss,"aw",@nobits
	.globl	__hip_cuid_b55c7588571b2ad9
__hip_cuid_b55c7588571b2ad9:
	.byte	0                               ; 0x0
	.size	__hip_cuid_b55c7588571b2ad9, 1

	.ident	"AMD clang version 19.0.0git (https://github.com/RadeonOpenCompute/llvm-project roc-6.4.0 25133 c7fe45cf4b819c5991fe208aaa96edf142730f1d)"
	.section	".note.GNU-stack","",@progbits
	.addrsig
	.addrsig_sym __hip_cuid_b55c7588571b2ad9
	.amdgpu_metadata
---
amdhsa.kernels:
  - .agpr_count:     0
    .args:
      - .actual_access:  read_only
        .address_space:  global
        .offset:         0
        .size:           8
        .value_kind:     global_buffer
      - .offset:         8
        .size:           8
        .value_kind:     by_value
      - .actual_access:  read_only
        .address_space:  global
        .offset:         16
        .size:           8
        .value_kind:     global_buffer
      - .actual_access:  read_only
        .address_space:  global
        .offset:         24
        .size:           8
        .value_kind:     global_buffer
      - .offset:         32
        .size:           8
        .value_kind:     by_value
      - .actual_access:  read_only
        .address_space:  global
        .offset:         40
        .size:           8
        .value_kind:     global_buffer
      - .actual_access:  read_only
        .address_space:  global
        .offset:         48
        .size:           8
        .value_kind:     global_buffer
      - .offset:         56
        .size:           4
        .value_kind:     by_value
      - .actual_access:  read_only
        .address_space:  global
        .offset:         64
        .size:           8
        .value_kind:     global_buffer
      - .actual_access:  read_only
        .address_space:  global
        .offset:         72
        .size:           8
        .value_kind:     global_buffer
      - .address_space:  global
        .offset:         80
        .size:           8
        .value_kind:     global_buffer
    .group_segment_fixed_size: 0
    .kernarg_segment_align: 8
    .kernarg_segment_size: 88
    .language:       OpenCL C
    .language_version:
      - 2
      - 0
    .max_flat_workgroup_size: 49
    .name:           fft_rtc_fwd_len2401_factors_7_7_7_7_wgs_49_tpt_49_halfLds_sp_ip_CI_sbrr_dirReg
    .private_segment_fixed_size: 0
    .sgpr_count:     28
    .sgpr_spill_count: 0
    .symbol:         fft_rtc_fwd_len2401_factors_7_7_7_7_wgs_49_tpt_49_halfLds_sp_ip_CI_sbrr_dirReg.kd
    .uniform_work_group_size: 1
    .uses_dynamic_stack: false
    .vgpr_count:     188
    .vgpr_spill_count: 0
    .wavefront_size: 64
amdhsa.target:   amdgcn-amd-amdhsa--gfx90a
amdhsa.version:
  - 1
  - 2
...

	.end_amdgpu_metadata
